;; amdgpu-corpus repo=ROCm/rocFFT kind=compiled arch=gfx906 opt=O3
	.text
	.amdgcn_target "amdgcn-amd-amdhsa--gfx906"
	.amdhsa_code_object_version 6
	.protected	fft_rtc_fwd_len1782_factors_11_3_3_3_3_2_wgs_99_tpt_99_halfLds_half_ip_CI_unitstride_sbrr_C2R_dirReg ; -- Begin function fft_rtc_fwd_len1782_factors_11_3_3_3_3_2_wgs_99_tpt_99_halfLds_half_ip_CI_unitstride_sbrr_C2R_dirReg
	.globl	fft_rtc_fwd_len1782_factors_11_3_3_3_3_2_wgs_99_tpt_99_halfLds_half_ip_CI_unitstride_sbrr_C2R_dirReg
	.p2align	8
	.type	fft_rtc_fwd_len1782_factors_11_3_3_3_3_2_wgs_99_tpt_99_halfLds_half_ip_CI_unitstride_sbrr_C2R_dirReg,@function
fft_rtc_fwd_len1782_factors_11_3_3_3_3_2_wgs_99_tpt_99_halfLds_half_ip_CI_unitstride_sbrr_C2R_dirReg: ; @fft_rtc_fwd_len1782_factors_11_3_3_3_3_2_wgs_99_tpt_99_halfLds_half_ip_CI_unitstride_sbrr_C2R_dirReg
; %bb.0:
	s_load_dwordx2 s[2:3], s[4:5], 0x50
	s_load_dwordx4 s[8:11], s[4:5], 0x0
	s_load_dwordx2 s[12:13], s[4:5], 0x18
	v_mul_u32_u24_e32 v1, 0x296, v0
	v_add_u32_sdwa v5, s6, v1 dst_sel:DWORD dst_unused:UNUSED_PAD src0_sel:DWORD src1_sel:WORD_1
	v_mov_b32_e32 v3, 0
	s_waitcnt lgkmcnt(0)
	v_cmp_lt_u64_e64 s[0:1], s[10:11], 2
	v_mov_b32_e32 v1, 0
	v_mov_b32_e32 v6, v3
	s_and_b64 vcc, exec, s[0:1]
	v_mov_b32_e32 v2, 0
	s_cbranch_vccnz .LBB0_8
; %bb.1:
	s_load_dwordx2 s[0:1], s[4:5], 0x10
	s_add_u32 s6, s12, 8
	s_addc_u32 s7, s13, 0
	v_mov_b32_e32 v1, 0
	v_mov_b32_e32 v2, 0
	s_waitcnt lgkmcnt(0)
	s_add_u32 s14, s0, 8
	s_addc_u32 s15, s1, 0
	s_mov_b64 s[16:17], 1
.LBB0_2:                                ; =>This Inner Loop Header: Depth=1
	s_load_dwordx2 s[18:19], s[14:15], 0x0
                                        ; implicit-def: $vgpr7_vgpr8
	s_waitcnt lgkmcnt(0)
	v_or_b32_e32 v4, s19, v6
	v_cmp_ne_u64_e32 vcc, 0, v[3:4]
	s_and_saveexec_b64 s[0:1], vcc
	s_xor_b64 s[20:21], exec, s[0:1]
	s_cbranch_execz .LBB0_4
; %bb.3:                                ;   in Loop: Header=BB0_2 Depth=1
	v_cvt_f32_u32_e32 v4, s18
	v_cvt_f32_u32_e32 v7, s19
	s_sub_u32 s0, 0, s18
	s_subb_u32 s1, 0, s19
	v_mac_f32_e32 v4, 0x4f800000, v7
	v_rcp_f32_e32 v4, v4
	v_mul_f32_e32 v4, 0x5f7ffffc, v4
	v_mul_f32_e32 v7, 0x2f800000, v4
	v_trunc_f32_e32 v7, v7
	v_mac_f32_e32 v4, 0xcf800000, v7
	v_cvt_u32_f32_e32 v7, v7
	v_cvt_u32_f32_e32 v4, v4
	v_mul_lo_u32 v8, s0, v7
	v_mul_hi_u32 v9, s0, v4
	v_mul_lo_u32 v11, s1, v4
	v_mul_lo_u32 v10, s0, v4
	v_add_u32_e32 v8, v9, v8
	v_add_u32_e32 v8, v8, v11
	v_mul_hi_u32 v9, v4, v10
	v_mul_lo_u32 v11, v4, v8
	v_mul_hi_u32 v13, v4, v8
	v_mul_hi_u32 v12, v7, v10
	v_mul_lo_u32 v10, v7, v10
	v_mul_hi_u32 v14, v7, v8
	v_add_co_u32_e32 v9, vcc, v9, v11
	v_addc_co_u32_e32 v11, vcc, 0, v13, vcc
	v_mul_lo_u32 v8, v7, v8
	v_add_co_u32_e32 v9, vcc, v9, v10
	v_addc_co_u32_e32 v9, vcc, v11, v12, vcc
	v_addc_co_u32_e32 v10, vcc, 0, v14, vcc
	v_add_co_u32_e32 v8, vcc, v9, v8
	v_addc_co_u32_e32 v9, vcc, 0, v10, vcc
	v_add_co_u32_e32 v4, vcc, v4, v8
	v_addc_co_u32_e32 v7, vcc, v7, v9, vcc
	v_mul_lo_u32 v8, s0, v7
	v_mul_hi_u32 v9, s0, v4
	v_mul_lo_u32 v10, s1, v4
	v_mul_lo_u32 v11, s0, v4
	v_add_u32_e32 v8, v9, v8
	v_add_u32_e32 v8, v8, v10
	v_mul_lo_u32 v12, v4, v8
	v_mul_hi_u32 v13, v4, v11
	v_mul_hi_u32 v14, v4, v8
	;; [unrolled: 1-line block ×3, first 2 shown]
	v_mul_lo_u32 v11, v7, v11
	v_mul_hi_u32 v9, v7, v8
	v_add_co_u32_e32 v12, vcc, v13, v12
	v_addc_co_u32_e32 v13, vcc, 0, v14, vcc
	v_mul_lo_u32 v8, v7, v8
	v_add_co_u32_e32 v11, vcc, v12, v11
	v_addc_co_u32_e32 v10, vcc, v13, v10, vcc
	v_addc_co_u32_e32 v9, vcc, 0, v9, vcc
	v_add_co_u32_e32 v8, vcc, v10, v8
	v_addc_co_u32_e32 v9, vcc, 0, v9, vcc
	v_add_co_u32_e32 v4, vcc, v4, v8
	v_addc_co_u32_e32 v9, vcc, v7, v9, vcc
	v_mad_u64_u32 v[7:8], s[0:1], v5, v9, 0
	v_mul_hi_u32 v10, v5, v4
	v_add_co_u32_e32 v11, vcc, v10, v7
	v_addc_co_u32_e32 v12, vcc, 0, v8, vcc
	v_mad_u64_u32 v[7:8], s[0:1], v6, v4, 0
	v_mad_u64_u32 v[9:10], s[0:1], v6, v9, 0
	v_add_co_u32_e32 v4, vcc, v11, v7
	v_addc_co_u32_e32 v4, vcc, v12, v8, vcc
	v_addc_co_u32_e32 v7, vcc, 0, v10, vcc
	v_add_co_u32_e32 v4, vcc, v4, v9
	v_addc_co_u32_e32 v9, vcc, 0, v7, vcc
	v_mul_lo_u32 v10, s19, v4
	v_mul_lo_u32 v11, s18, v9
	v_mad_u64_u32 v[7:8], s[0:1], s18, v4, 0
	v_add3_u32 v8, v8, v11, v10
	v_sub_u32_e32 v10, v6, v8
	v_mov_b32_e32 v11, s19
	v_sub_co_u32_e32 v7, vcc, v5, v7
	v_subb_co_u32_e64 v10, s[0:1], v10, v11, vcc
	v_subrev_co_u32_e64 v11, s[0:1], s18, v7
	v_subbrev_co_u32_e64 v10, s[0:1], 0, v10, s[0:1]
	v_cmp_le_u32_e64 s[0:1], s19, v10
	v_cndmask_b32_e64 v12, 0, -1, s[0:1]
	v_cmp_le_u32_e64 s[0:1], s18, v11
	v_cndmask_b32_e64 v11, 0, -1, s[0:1]
	v_cmp_eq_u32_e64 s[0:1], s19, v10
	v_cndmask_b32_e64 v10, v12, v11, s[0:1]
	v_add_co_u32_e64 v11, s[0:1], 2, v4
	v_addc_co_u32_e64 v12, s[0:1], 0, v9, s[0:1]
	v_add_co_u32_e64 v13, s[0:1], 1, v4
	v_addc_co_u32_e64 v14, s[0:1], 0, v9, s[0:1]
	v_subb_co_u32_e32 v8, vcc, v6, v8, vcc
	v_cmp_ne_u32_e64 s[0:1], 0, v10
	v_cmp_le_u32_e32 vcc, s19, v8
	v_cndmask_b32_e64 v10, v14, v12, s[0:1]
	v_cndmask_b32_e64 v12, 0, -1, vcc
	v_cmp_le_u32_e32 vcc, s18, v7
	v_cndmask_b32_e64 v7, 0, -1, vcc
	v_cmp_eq_u32_e32 vcc, s19, v8
	v_cndmask_b32_e32 v7, v12, v7, vcc
	v_cmp_ne_u32_e32 vcc, 0, v7
	v_cndmask_b32_e64 v7, v13, v11, s[0:1]
	v_cndmask_b32_e32 v8, v9, v10, vcc
	v_cndmask_b32_e32 v7, v4, v7, vcc
.LBB0_4:                                ;   in Loop: Header=BB0_2 Depth=1
	s_andn2_saveexec_b64 s[0:1], s[20:21]
	s_cbranch_execz .LBB0_6
; %bb.5:                                ;   in Loop: Header=BB0_2 Depth=1
	v_cvt_f32_u32_e32 v4, s18
	s_sub_i32 s20, 0, s18
	v_rcp_iflag_f32_e32 v4, v4
	v_mul_f32_e32 v4, 0x4f7ffffe, v4
	v_cvt_u32_f32_e32 v4, v4
	v_mul_lo_u32 v7, s20, v4
	v_mul_hi_u32 v7, v4, v7
	v_add_u32_e32 v4, v4, v7
	v_mul_hi_u32 v4, v5, v4
	v_mul_lo_u32 v7, v4, s18
	v_add_u32_e32 v8, 1, v4
	v_sub_u32_e32 v7, v5, v7
	v_subrev_u32_e32 v9, s18, v7
	v_cmp_le_u32_e32 vcc, s18, v7
	v_cndmask_b32_e32 v7, v7, v9, vcc
	v_cndmask_b32_e32 v4, v4, v8, vcc
	v_add_u32_e32 v8, 1, v4
	v_cmp_le_u32_e32 vcc, s18, v7
	v_cndmask_b32_e32 v7, v4, v8, vcc
	v_mov_b32_e32 v8, v3
.LBB0_6:                                ;   in Loop: Header=BB0_2 Depth=1
	s_or_b64 exec, exec, s[0:1]
	v_mul_lo_u32 v4, v8, s18
	v_mul_lo_u32 v11, v7, s19
	v_mad_u64_u32 v[9:10], s[0:1], v7, s18, 0
	s_load_dwordx2 s[0:1], s[6:7], 0x0
	s_add_u32 s16, s16, 1
	v_add3_u32 v4, v10, v11, v4
	v_sub_co_u32_e32 v5, vcc, v5, v9
	v_subb_co_u32_e32 v4, vcc, v6, v4, vcc
	s_waitcnt lgkmcnt(0)
	v_mul_lo_u32 v4, s0, v4
	v_mul_lo_u32 v6, s1, v5
	v_mad_u64_u32 v[1:2], s[0:1], s0, v5, v[1:2]
	s_addc_u32 s17, s17, 0
	s_add_u32 s6, s6, 8
	v_add3_u32 v2, v6, v2, v4
	v_mov_b32_e32 v4, s10
	v_mov_b32_e32 v5, s11
	s_addc_u32 s7, s7, 0
	v_cmp_ge_u64_e32 vcc, s[16:17], v[4:5]
	s_add_u32 s14, s14, 8
	s_addc_u32 s15, s15, 0
	s_cbranch_vccnz .LBB0_9
; %bb.7:                                ;   in Loop: Header=BB0_2 Depth=1
	v_mov_b32_e32 v5, v7
	v_mov_b32_e32 v6, v8
	s_branch .LBB0_2
.LBB0_8:
	v_mov_b32_e32 v8, v6
	v_mov_b32_e32 v7, v5
.LBB0_9:
	s_lshl_b64 s[0:1], s[10:11], 3
	s_add_u32 s0, s12, s0
	s_addc_u32 s1, s13, s1
	s_load_dwordx2 s[6:7], s[0:1], 0x0
	s_load_dwordx2 s[10:11], s[4:5], 0x20
	s_waitcnt lgkmcnt(0)
	v_mad_u64_u32 v[1:2], s[0:1], s6, v7, v[1:2]
	s_mov_b32 s0, 0x295fad5
	v_mul_lo_u32 v3, s6, v8
	v_mul_lo_u32 v4, s7, v7
	v_mul_hi_u32 v5, v0, s0
	v_cmp_gt_u64_e64 s[0:1], s[10:11], v[7:8]
	v_add3_u32 v2, v4, v2, v3
	v_mul_u32_u24_e32 v3, 0x63, v5
	v_sub_u32_e32 v4, v0, v3
	v_lshlrev_b64 v[2:3], 2, v[1:2]
	v_mov_b32_e32 v5, 0
	v_mov_b32_e32 v8, v4
                                        ; implicit-def: $vgpr0
	s_and_saveexec_b64 s[4:5], s[0:1]
	s_cbranch_execz .LBB0_13
; %bb.10:
	v_mov_b32_e32 v0, s3
	v_add_co_u32_e32 v7, vcc, s2, v2
	v_addc_co_u32_e32 v6, vcc, v0, v3, vcc
	v_lshlrev_b64 v[0:1], 2, v[4:5]
	s_movk_i32 s6, 0x1000
	v_add_co_u32_e32 v0, vcc, v7, v0
	v_addc_co_u32_e32 v1, vcc, v6, v1, vcc
	v_add_co_u32_e32 v8, vcc, s6, v0
	global_load_dword v10, v[0:1], off
	global_load_dword v11, v[0:1], off offset:396
	global_load_dword v12, v[0:1], off offset:792
	;; [unrolled: 1-line block ×7, first 2 shown]
	v_addc_co_u32_e32 v9, vcc, 0, v1, vcc
	global_load_dword v18, v[0:1], off offset:3168
	global_load_dword v19, v[0:1], off offset:3564
	;; [unrolled: 1-line block ×10, first 2 shown]
	v_lshl_add_u32 v0, v4, 2, 0
	v_add_u32_e32 v1, 0x200, v0
	s_movk_i32 s6, 0x62
	v_add_u32_e32 v8, 0x400, v0
	v_add_u32_e32 v9, 0x800, v0
	;; [unrolled: 1-line block ×7, first 2 shown]
	v_cmp_eq_u32_e32 vcc, s6, v4
	s_waitcnt vmcnt(14)
	ds_write2_b32 v1, v12, v13 offset0:70 offset1:169
	ds_write2_b32 v0, v10, v11 offset1:99
	s_waitcnt vmcnt(12)
	ds_write2_b32 v8, v14, v15 offset0:140 offset1:239
	s_waitcnt vmcnt(10)
	ds_write2_b32 v9, v16, v17 offset0:82 offset1:181
	;; [unrolled: 2-line block ×7, first 2 shown]
	v_mov_b32_e32 v0, v4
	v_mov_b32_e32 v1, v5
	s_and_saveexec_b64 s[6:7], vcc
	s_cbranch_execz .LBB0_12
; %bb.11:
	v_add_co_u32_e32 v0, vcc, 0x1000, v7
	v_addc_co_u32_e32 v1, vcc, 0, v6, vcc
	global_load_dword v4, v[0:1], off offset:3032
	v_mov_b32_e32 v5, 0
	v_mov_b32_e32 v0, 0x62
	;; [unrolled: 1-line block ×3, first 2 shown]
	s_waitcnt vmcnt(0)
	ds_write_b32 v5, v4 offset:7128
	v_mov_b32_e32 v4, 0x62
.LBB0_12:
	s_or_b64 exec, exec, s[6:7]
	v_mov_b32_e32 v8, v4
	v_mov_b32_e32 v5, v1
	;; [unrolled: 1-line block ×4, first 2 shown]
.LBB0_13:
	s_or_b64 exec, exec, s[4:5]
	v_lshlrev_b32_e32 v6, 2, v8
	v_add_u32_e32 v1, 0, v6
	s_waitcnt lgkmcnt(0)
	s_barrier
	v_sub_u32_e32 v10, 0, v6
	ds_read_u16 v6, v1
	ds_read_u16 v7, v10 offset:7128
	s_add_u32 s6, s8, 0x1bac
	v_lshlrev_b64 v[4:5], 2, v[4:5]
	s_addc_u32 s7, s9, 0
	v_cmp_ne_u32_e32 vcc, 0, v8
	s_waitcnt lgkmcnt(0)
	v_add_f16_e32 v11, v7, v6
	v_sub_f16_e32 v12, v6, v7
	s_and_saveexec_b64 s[4:5], vcc
	s_xor_b64 s[4:5], exec, s[4:5]
	s_cbranch_execz .LBB0_15
; %bb.14:
	v_mov_b32_e32 v9, s7
	v_add_co_u32_e32 v11, vcc, s6, v4
	v_addc_co_u32_e32 v12, vcc, v9, v5, vcc
	global_load_dword v9, v[11:12], off
	ds_read_u16 v11, v10 offset:7130
	ds_read_u16 v12, v1 offset:2
	v_add_f16_e32 v13, v7, v6
	v_sub_f16_e32 v6, v6, v7
	s_waitcnt lgkmcnt(0)
	v_add_f16_e32 v7, v11, v12
	v_sub_f16_e32 v11, v12, v11
	s_waitcnt vmcnt(0)
	v_lshrrev_b32_e32 v12, 16, v9
	v_fma_f16 v14, v6, v12, v13
	v_fma_f16 v15, v7, v12, v11
	v_fma_f16 v13, -v6, v12, v13
	v_fma_f16 v16, v7, v12, -v11
	v_fma_f16 v11, -v9, v7, v14
	v_fma_f16 v12, v6, v9, v15
	v_fma_f16 v7, v9, v7, v13
	;; [unrolled: 1-line block ×3, first 2 shown]
	v_pack_b32_f16 v6, v7, v6
	ds_write_b32 v10, v6 offset:7128
.LBB0_15:
	s_andn2_saveexec_b64 s[4:5], s[4:5]
	s_cbranch_execz .LBB0_17
; %bb.16:
	v_mov_b32_e32 v6, 0
	ds_read_b32 v7, v6 offset:3564
	s_mov_b32 s10, 0xc0004000
	s_waitcnt lgkmcnt(0)
	v_pk_mul_f16 v7, v7, s10
	ds_write_b32 v6, v7 offset:3564
.LBB0_17:
	s_or_b64 exec, exec, s[4:5]
	v_mov_b32_e32 v9, 0
	v_lshlrev_b64 v[6:7], 2, v[8:9]
	v_mov_b32_e32 v14, s7
	v_add_co_u32_e32 v13, vcc, s6, v6
	v_addc_co_u32_e32 v14, vcc, v14, v7, vcc
	global_load_dword v15, v[13:14], off offset:396
	global_load_dword v16, v[13:14], off offset:792
	;; [unrolled: 1-line block ×4, first 2 shown]
	s_mov_b32 s4, 0x5040100
	v_perm_b32 v11, v12, v11, s4
	ds_write_b32 v1, v11
	ds_read_b32 v11, v1 offset:396
	ds_read_b32 v12, v10 offset:6732
	global_load_dword v19, v[13:14], off offset:1980
	global_load_dword v20, v[13:14], off offset:2376
	;; [unrolled: 1-line block ×4, first 2 shown]
	v_add_u32_e32 v32, 0x200, v1
	v_add_u32_e32 v33, 0x400, v1
	;; [unrolled: 1-line block ×3, first 2 shown]
	s_waitcnt lgkmcnt(0)
	v_add_f16_e32 v13, v11, v12
	v_add_f16_sdwa v14, v12, v11 dst_sel:DWORD dst_unused:UNUSED_PAD src0_sel:WORD_1 src1_sel:WORD_1
	v_sub_f16_e32 v23, v11, v12
	v_sub_f16_sdwa v11, v11, v12 dst_sel:DWORD dst_unused:UNUSED_PAD src0_sel:WORD_1 src1_sel:WORD_1
	v_add_u32_e32 v35, 0xc00, v1
	v_add_u32_e32 v36, 0xe00, v1
	;; [unrolled: 1-line block ×5, first 2 shown]
	s_mov_b32 s16, 0xb853
	s_movk_i32 s12, 0x36a6
	s_mov_b32 s13, 0xb08e
	s_mov_b32 s15, 0xb93d
	s_movk_i32 s10, 0x3abb
	s_mov_b32 s17, 0xbb47
	s_mov_b32 s19, 0x3abb36a6
	;; [unrolled: 1-line block ×7, first 2 shown]
	s_movk_i32 s24, 0x3482
	s_mov_b32 s18, 0xbbad
	s_mov_b32 s14, 0xba0c
	s_movk_i32 s28, 0x3beb
	s_mov_b32 s26, 0xb08ebbad
	s_mov_b32 s27, 0x3482bbeb
	;; [unrolled: 3-line block ×3, first 2 shown]
	s_mov_b32 s25, 0xb482
	s_mov_b32 s33, 0xbbad3abb
	;; [unrolled: 1-line block ×3, first 2 shown]
	v_mad_u32_u24 v39, v8, 40, v1
	s_movk_i32 s29, 0x3853
	s_movk_i32 s7, 0x1000
	v_cmp_gt_u32_e32 vcc, 63, v8
	s_waitcnt vmcnt(7)
	v_lshrrev_b32_e32 v12, 16, v15
	v_fma_f16 v24, v23, v12, v13
	v_fma_f16 v25, v14, v12, v11
	v_fma_f16 v13, -v23, v12, v13
	v_fma_f16 v11, v14, v12, -v11
	v_fma_f16 v12, -v15, v14, v24
	v_fma_f16 v24, v23, v15, v25
	v_fma_f16 v13, v15, v14, v13
	;; [unrolled: 1-line block ×3, first 2 shown]
	v_pack_b32_f16 v12, v12, v24
	v_pack_b32_f16 v11, v13, v11
	ds_write_b32 v1, v12 offset:396
	ds_write_b32 v10, v11 offset:6732
	ds_read_b32 v11, v1 offset:792
	ds_read_b32 v12, v10 offset:6336
	s_waitcnt vmcnt(6)
	v_lshrrev_b32_e32 v13, 16, v16
	s_waitcnt lgkmcnt(0)
	v_add_f16_e32 v14, v11, v12
	v_add_f16_sdwa v15, v12, v11 dst_sel:DWORD dst_unused:UNUSED_PAD src0_sel:WORD_1 src1_sel:WORD_1
	v_sub_f16_e32 v23, v11, v12
	v_sub_f16_sdwa v11, v11, v12 dst_sel:DWORD dst_unused:UNUSED_PAD src0_sel:WORD_1 src1_sel:WORD_1
	v_fma_f16 v12, v23, v13, v14
	v_fma_f16 v24, v15, v13, v11
	v_fma_f16 v14, -v23, v13, v14
	v_fma_f16 v11, v15, v13, -v11
	v_fma_f16 v12, -v16, v15, v12
	v_fma_f16 v13, v23, v16, v24
	v_fma_f16 v14, v16, v15, v14
	;; [unrolled: 1-line block ×3, first 2 shown]
	v_pack_b32_f16 v12, v12, v13
	v_pack_b32_f16 v11, v14, v11
	ds_write_b32 v1, v12 offset:792
	ds_write_b32 v10, v11 offset:6336
	ds_read_b32 v11, v1 offset:1188
	ds_read_b32 v12, v10 offset:5940
	s_waitcnt vmcnt(5)
	v_lshrrev_b32_e32 v13, 16, v17
	v_add_u32_e32 v24, 0x1000, v1
	s_waitcnt lgkmcnt(0)
	v_add_f16_e32 v14, v11, v12
	v_add_f16_sdwa v15, v12, v11 dst_sel:DWORD dst_unused:UNUSED_PAD src0_sel:WORD_1 src1_sel:WORD_1
	v_sub_f16_e32 v16, v11, v12
	v_sub_f16_sdwa v11, v11, v12 dst_sel:DWORD dst_unused:UNUSED_PAD src0_sel:WORD_1 src1_sel:WORD_1
	v_fma_f16 v12, v16, v13, v14
	v_fma_f16 v23, v15, v13, v11
	v_fma_f16 v14, -v16, v13, v14
	v_fma_f16 v11, v15, v13, -v11
	v_fma_f16 v12, -v17, v15, v12
	v_fma_f16 v13, v16, v17, v23
	v_fma_f16 v14, v17, v15, v14
	v_fma_f16 v11, v16, v17, v11
	v_pack_b32_f16 v12, v12, v13
	v_pack_b32_f16 v11, v14, v11
	ds_write_b32 v1, v12 offset:1188
	ds_write_b32 v10, v11 offset:5940
	ds_read_b32 v11, v1 offset:1584
	ds_read_b32 v12, v10 offset:5544
	s_waitcnt vmcnt(4)
	v_lshrrev_b32_e32 v13, 16, v18
	s_waitcnt lgkmcnt(0)
	v_add_f16_e32 v14, v11, v12
	v_add_f16_sdwa v15, v12, v11 dst_sel:DWORD dst_unused:UNUSED_PAD src0_sel:WORD_1 src1_sel:WORD_1
	v_sub_f16_e32 v16, v11, v12
	v_sub_f16_sdwa v11, v11, v12 dst_sel:DWORD dst_unused:UNUSED_PAD src0_sel:WORD_1 src1_sel:WORD_1
	v_fma_f16 v12, v16, v13, v14
	v_fma_f16 v17, v15, v13, v11
	v_fma_f16 v14, -v16, v13, v14
	v_fma_f16 v11, v15, v13, -v11
	v_fma_f16 v12, -v18, v15, v12
	v_fma_f16 v13, v16, v18, v17
	v_fma_f16 v14, v18, v15, v14
	v_fma_f16 v11, v16, v18, v11
	v_pack_b32_f16 v12, v12, v13
	v_pack_b32_f16 v11, v14, v11
	ds_write_b32 v1, v12 offset:1584
	ds_write_b32 v10, v11 offset:5544
	ds_read_b32 v11, v1 offset:1980
	ds_read_b32 v12, v10 offset:5148
	s_waitcnt vmcnt(3)
	v_lshrrev_b32_e32 v13, 16, v19
	;; [unrolled: 21-line block ×4, first 2 shown]
	s_waitcnt lgkmcnt(0)
	v_add_f16_e32 v14, v11, v12
	v_add_f16_sdwa v15, v12, v11 dst_sel:DWORD dst_unused:UNUSED_PAD src0_sel:WORD_1 src1_sel:WORD_1
	v_sub_f16_e32 v16, v11, v12
	v_sub_f16_sdwa v11, v11, v12 dst_sel:DWORD dst_unused:UNUSED_PAD src0_sel:WORD_1 src1_sel:WORD_1
	v_fma_f16 v12, v16, v13, v14
	v_fma_f16 v17, v15, v13, v11
	v_fma_f16 v14, -v16, v13, v14
	v_fma_f16 v11, v15, v13, -v11
	v_fma_f16 v12, -v21, v15, v12
	v_fma_f16 v13, v16, v21, v17
	v_fma_f16 v14, v21, v15, v14
	;; [unrolled: 1-line block ×3, first 2 shown]
	v_pack_b32_f16 v12, v12, v13
	v_pack_b32_f16 v11, v14, v11
	ds_write_b32 v1, v12 offset:2772
	ds_write_b32 v10, v11 offset:4356
	ds_read_b32 v11, v1 offset:3168
	ds_read_b32 v12, v10 offset:3960
	s_waitcnt lgkmcnt(0)
	v_add_f16_e32 v13, v11, v12
	v_add_f16_sdwa v14, v12, v11 dst_sel:DWORD dst_unused:UNUSED_PAD src0_sel:WORD_1 src1_sel:WORD_1
	v_sub_f16_e32 v15, v11, v12
	v_sub_f16_sdwa v11, v11, v12 dst_sel:DWORD dst_unused:UNUSED_PAD src0_sel:WORD_1 src1_sel:WORD_1
	s_waitcnt vmcnt(0)
	v_lshrrev_b32_e32 v12, 16, v22
	v_fma_f16 v16, v15, v12, v13
	v_fma_f16 v17, v14, v12, v11
	v_fma_f16 v13, -v15, v12, v13
	v_fma_f16 v11, v14, v12, -v11
	v_fma_f16 v16, -v22, v14, v16
	v_fma_f16 v17, v15, v22, v17
	v_fma_f16 v13, v22, v14, v13
	;; [unrolled: 1-line block ×3, first 2 shown]
	v_pack_b32_f16 v16, v16, v17
	v_pack_b32_f16 v11, v13, v11
	ds_write_b32 v1, v16 offset:3168
	ds_write_b32 v10, v11 offset:3960
	s_waitcnt lgkmcnt(0)
	s_barrier
	s_barrier
	ds_read2_b32 v[10:11], v1 offset1:99
	ds_read2_b32 v[12:13], v32 offset0:34 offset1:133
	ds_read2_b32 v[14:15], v33 offset0:68 offset1:167
	v_add_u32_e32 v16, 0x600, v1
	ds_read2_b32 v[16:17], v16 offset0:102 offset1:201
	ds_read2_b32 v[18:19], v34 offset0:136 offset1:235
	;; [unrolled: 1-line block ×4, first 2 shown]
	s_waitcnt lgkmcnt(5)
	v_pk_add_f16 v40, v10, v12
	ds_read2_b32 v[24:25], v24 offset0:110 offset1:209
	s_waitcnt lgkmcnt(5)
	v_pk_add_f16 v40, v40, v14
	ds_read2_b32 v[26:27], v37 offset0:16 offset1:115
	ds_read2_b32 v[30:31], v38 offset0:84 offset1:183
	s_waitcnt lgkmcnt(6)
	v_pk_add_f16 v40, v40, v16
	ds_read2_b32 v[28:29], v28 offset0:50 offset1:149
	s_waitcnt lgkmcnt(6)
	v_pk_add_f16 v40, v40, v18
	s_waitcnt lgkmcnt(5)
	v_pk_add_f16 v40, v40, v20
	s_waitcnt lgkmcnt(4)
	v_pk_add_f16 v40, v40, v22
	s_waitcnt lgkmcnt(3)
	v_pk_add_f16 v40, v40, v24
	s_waitcnt lgkmcnt(2)
	v_pk_add_f16 v40, v40, v26
	s_waitcnt lgkmcnt(1)
	v_pk_add_f16 v41, v30, v12
	v_pk_add_f16 v12, v12, v30 neg_lo:[0,1] neg_hi:[0,1]
	s_waitcnt lgkmcnt(0)
	v_pk_add_f16 v40, v40, v28
	v_lshrrev_b32_e32 v47, 16, v41
	v_mul_f16_e32 v48, 0xbb47, v12
	v_mul_f16_e32 v52, 0xbbeb, v12
	;; [unrolled: 1-line block ×3, first 2 shown]
	v_pk_add_f16 v40, v40, v30
	v_mul_f16_sdwa v30, v12, s16 dst_sel:DWORD dst_unused:UNUSED_PAD src0_sel:WORD_1 src1_sel:DWORD
	v_fma_f16 v49, v47, s12, v48
	v_fma_f16 v48, v47, s12, -v48
	v_fma_f16 v53, v47, s13, v52
	v_fma_f16 v52, v47, s13, -v52
	v_fma_f16 v57, v47, s15, v56
	v_fma_f16 v47, v47, s15, -v56
	v_pk_add_f16 v56, v28, v14
	v_pk_add_f16 v14, v14, v28 neg_lo:[0,1] neg_hi:[0,1]
	v_fma_f16 v42, v41, s10, -v30
	v_fma_f16 v30, v41, s10, v30
	v_mul_f16_sdwa v28, v14, s17 dst_sel:DWORD dst_unused:UNUSED_PAD src0_sel:WORD_1 src1_sel:DWORD
	v_add_f16_e32 v30, v10, v30
	v_pk_mul_f16 v43, v41, s19
	v_fma_f16 v58, v56, s12, -v28
	v_fma_f16 v28, v56, s12, v28
	v_add_f16_e32 v42, v10, v42
	v_pk_fma_f16 v44, v12, s20, v43 op_sel:[0,0,1] op_sel_hi:[1,1,0] neg_lo:[1,0,0] neg_hi:[1,0,0]
	v_pk_fma_f16 v43, v12, s20, v43 op_sel:[0,0,1] op_sel_hi:[1,1,0]
	v_add_f16_e32 v28, v28, v30
	v_pk_mul_f16 v30, v56, s22
	v_bfi_b32 v46, s6, v43, v44
	v_add_f16_e32 v42, v58, v42
	v_pk_fma_f16 v58, v14, s23, v30 op_sel:[0,0,1] op_sel_hi:[1,1,0] neg_lo:[1,0,0] neg_hi:[1,0,0]
	v_pk_fma_f16 v30, v14, s23, v30 op_sel:[0,0,1] op_sel_hi:[1,1,0]
	v_pk_add_f16 v46, v10, v46 op_sel:[1,0] op_sel_hi:[0,1]
	v_alignbit_b32 v43, s0, v43, 16
	v_bfi_b32 v59, s6, v30, v58
	v_pk_add_f16 v43, v10, v43
	v_pk_add_f16 v46, v59, v46
	v_lshrrev_b32_e32 v59, 16, v56
	v_mul_f16_e32 v60, 0xba0c, v14
	v_alignbit_b32 v30, s0, v30, 16
	v_add_f16_sdwa v48, v10, v48 dst_sel:DWORD dst_unused:UNUSED_PAD src0_sel:WORD_1 src1_sel:DWORD
	v_mul_f16_sdwa v50, v12, s11 dst_sel:DWORD dst_unused:UNUSED_PAD src0_sel:WORD_1 src1_sel:DWORD
	v_pk_add_f16 v30, v30, v43
	v_fma_f16 v43, v59, s15, -v60
	v_fma_f16 v51, v41, s13, -v50
	v_add_f16_e32 v43, v43, v48
	v_mul_f16_sdwa v48, v14, s24 dst_sel:DWORD dst_unused:UNUSED_PAD src0_sel:WORD_1 src1_sel:DWORD
	v_add_f16_e32 v51, v10, v51
	v_fma_f16 v50, v41, s13, v50
	v_fma_f16 v61, v59, s15, v60
	v_fma_f16 v60, v56, s18, -v48
	v_add_f16_e32 v50, v10, v50
	v_add_f16_e32 v51, v60, v51
	v_mul_f16_e32 v60, 0x3482, v14
	v_fma_f16 v48, v56, s18, v48
	v_add_f16_sdwa v52, v10, v52 dst_sel:DWORD dst_unused:UNUSED_PAD src0_sel:WORD_1 src1_sel:DWORD
	v_mul_f16_sdwa v54, v12, s14 dst_sel:DWORD dst_unused:UNUSED_PAD src0_sel:WORD_1 src1_sel:DWORD
	v_add_f16_e32 v48, v48, v50
	v_fma_f16 v50, v59, s18, -v60
	v_add_f16_sdwa v49, v10, v49 dst_sel:DWORD dst_unused:UNUSED_PAD src0_sel:WORD_1 src1_sel:DWORD
	v_fma_f16 v55, v41, s15, -v54
	v_add_f16_e32 v50, v50, v52
	v_mul_f16_sdwa v52, v14, s28 dst_sel:DWORD dst_unused:UNUSED_PAD src0_sel:WORD_1 src1_sel:DWORD
	v_add_f16_e32 v55, v10, v55
	v_fma_f16 v54, v41, s15, v54
	v_add_f16_e32 v49, v61, v49
	v_fma_f16 v61, v59, s18, v60
	v_fma_f16 v60, v56, s13, -v52
	v_add_f16_e32 v54, v10, v54
	v_add_f16_e32 v55, v60, v55
	v_mul_f16_e32 v60, 0x3beb, v14
	v_fma_f16 v52, v56, s13, v52
	v_add_f16_sdwa v47, v10, v47 dst_sel:DWORD dst_unused:UNUSED_PAD src0_sel:WORD_1 src1_sel:DWORD
	v_add_f16_e32 v52, v52, v54
	v_fma_f16 v54, v59, s13, -v60
	v_add_f16_e32 v47, v54, v47
	v_pk_add_f16 v54, v26, v16
	v_pk_add_f16 v16, v16, v26 neg_lo:[0,1] neg_hi:[0,1]
	v_add_f16_sdwa v53, v10, v53 dst_sel:DWORD dst_unused:UNUSED_PAD src0_sel:WORD_1 src1_sel:DWORD
	v_mul_f16_sdwa v26, v16, s11 dst_sel:DWORD dst_unused:UNUSED_PAD src0_sel:WORD_1 src1_sel:DWORD
	v_add_f16_e32 v53, v61, v53
	v_fma_f16 v61, v59, s13, v60
	v_fma_f16 v59, v54, s13, -v26
	v_fma_f16 v26, v54, s13, v26
	v_add_f16_e32 v26, v26, v28
	v_pk_mul_f16 v28, v54, s26
	v_add_f16_e32 v42, v59, v42
	v_pk_fma_f16 v59, v16, s27, v28 op_sel:[0,0,1] op_sel_hi:[1,1,0] neg_lo:[1,0,0] neg_hi:[1,0,0]
	v_pk_fma_f16 v28, v16, s27, v28 op_sel:[0,0,1] op_sel_hi:[1,1,0]
	v_add_f16_sdwa v57, v10, v57 dst_sel:DWORD dst_unused:UNUSED_PAD src0_sel:WORD_1 src1_sel:DWORD
	v_bfi_b32 v60, s6, v28, v59
	v_add_f16_e32 v57, v61, v57
	v_pk_add_f16 v46, v60, v46
	v_lshrrev_b32_e32 v60, 16, v54
	v_mul_f16_e32 v61, 0x3482, v16
	v_alignbit_b32 v28, s0, v28, 16
	v_pk_add_f16 v28, v28, v30
	v_fma_f16 v30, v60, s18, -v61
	v_add_f16_e32 v30, v30, v43
	v_mul_f16_sdwa v43, v16, s21 dst_sel:DWORD dst_unused:UNUSED_PAD src0_sel:WORD_1 src1_sel:DWORD
	v_fma_f16 v62, v60, s18, v61
	v_fma_f16 v61, v54, s12, -v43
	v_add_f16_e32 v51, v61, v51
	v_mul_f16_e32 v61, 0x3b47, v16
	v_fma_f16 v43, v54, s12, v43
	v_add_f16_e32 v43, v43, v48
	v_fma_f16 v48, v60, s12, -v61
	v_add_f16_e32 v48, v48, v50
	v_mul_f16_sdwa v50, v16, s16 dst_sel:DWORD dst_unused:UNUSED_PAD src0_sel:WORD_1 src1_sel:DWORD
	v_add_f16_e32 v49, v62, v49
	v_fma_f16 v62, v60, s12, v61
	v_fma_f16 v61, v54, s10, -v50
	v_add_f16_e32 v55, v61, v55
	v_mul_f16_e32 v61, 0xb853, v16
	v_fma_f16 v50, v54, s10, v50
	v_add_f16_e32 v50, v50, v52
	v_fma_f16 v52, v60, s10, -v61
	v_add_f16_e32 v47, v52, v47
	v_pk_add_f16 v52, v24, v18
	v_pk_add_f16 v18, v18, v24 neg_lo:[0,1] neg_hi:[0,1]
	v_mul_f16_sdwa v24, v18, s14 dst_sel:DWORD dst_unused:UNUSED_PAD src0_sel:WORD_1 src1_sel:DWORD
	v_add_f16_e32 v53, v62, v53
	v_fma_f16 v62, v60, s10, v61
	v_fma_f16 v60, v52, s15, -v24
	v_fma_f16 v24, v52, s15, v24
	v_add_f16_e32 v24, v24, v26
	v_pk_mul_f16 v26, v52, s30
	v_add_f16_e32 v42, v60, v42
	v_pk_fma_f16 v60, v18, s31, v26 op_sel:[0,0,1] op_sel_hi:[1,1,0] neg_lo:[1,0,0] neg_hi:[1,0,0]
	v_pk_fma_f16 v26, v18, s31, v26 op_sel:[0,0,1] op_sel_hi:[1,1,0]
	v_bfi_b32 v61, s6, v26, v60
	v_add_f16_e32 v57, v62, v57
	v_pk_add_f16 v46, v61, v46
	v_lshrrev_b32_e32 v61, 16, v52
	v_mul_f16_e32 v62, 0x3beb, v18
	v_fma_f16 v63, v61, s13, v62
	v_fma_f16 v62, v61, s13, -v62
	v_add_f16_e32 v30, v62, v30
	v_mul_f16_sdwa v62, v18, s16 dst_sel:DWORD dst_unused:UNUSED_PAD src0_sel:WORD_1 src1_sel:DWORD
	v_add_f16_e32 v49, v63, v49
	v_fma_f16 v63, v52, s10, -v62
	v_add_f16_e32 v51, v63, v51
	v_mul_f16_e32 v63, 0xb853, v18
	v_fma_f16 v62, v52, s10, v62
	v_fma_f16 v64, v61, s10, v63
	v_add_f16_e32 v43, v62, v43
	v_fma_f16 v62, v61, s10, -v63
	v_mul_f16_sdwa v63, v18, s25 dst_sel:DWORD dst_unused:UNUSED_PAD src0_sel:WORD_1 src1_sel:DWORD
	v_add_f16_e32 v53, v64, v53
	v_fma_f16 v64, v52, s18, -v63
	v_add_f16_e32 v55, v64, v55
	v_mul_f16_e32 v64, 0xb482, v18
	v_fma_f16 v65, v61, s18, v64
	v_fma_f16 v61, v61, s18, -v64
	v_add_f16_e32 v47, v61, v47
	v_pk_add_f16 v61, v22, v20
	v_pk_add_f16 v20, v20, v22 neg_lo:[0,1] neg_hi:[0,1]
	v_fma_f16 v63, v52, s18, v63
	v_mul_f16_sdwa v22, v20, s25 dst_sel:DWORD dst_unused:UNUSED_PAD src0_sel:WORD_1 src1_sel:DWORD
	v_add_f16_e32 v50, v63, v50
	v_fma_f16 v63, v61, s18, -v22
	v_fma_f16 v22, v61, s18, v22
	v_add_f16_e32 v22, v22, v24
	v_pk_mul_f16 v24, v61, s33
	v_add_f16_sdwa v44, v10, v44 dst_sel:DWORD dst_unused:UNUSED_PAD src0_sel:WORD_1 src1_sel:DWORD
	v_pk_fma_f16 v64, v20, s34, v24 op_sel:[0,0,1] op_sel_hi:[1,1,0] neg_lo:[1,0,0] neg_hi:[1,0,0]
	v_add_f16_e32 v44, v58, v44
	v_pk_fma_f16 v58, v20, s34, v24 op_sel:[0,0,1] op_sel_hi:[1,1,0]
	v_bfi_b32 v58, s6, v58, v64
	v_add_f16_e32 v44, v59, v44
	v_pk_add_f16 v46, v58, v46
	v_lshrrev_b32_e32 v58, 16, v61
	v_mul_f16_e32 v59, 0x3853, v20
	v_add_f16_e32 v44, v60, v44
	v_fma_f16 v60, v58, s10, v59
	v_fma_f16 v59, v58, s10, -v59
	v_add_f16_e32 v30, v59, v30
	v_mul_f16_sdwa v59, v20, s14 dst_sel:DWORD dst_unused:UNUSED_PAD src0_sel:WORD_1 src1_sel:DWORD
	v_add_f16_e32 v49, v60, v49
	v_fma_f16 v60, v61, s15, -v59
	v_add_f16_e32 v51, v60, v51
	v_mul_f16_e32 v60, 0xb93d, v58
	v_fma_f16 v59, v61, s15, v59
	v_add_f16_e32 v57, v65, v57
	v_fma_f16 v65, v20, s14, v60
	v_add_f16_e32 v43, v59, v43
	v_mul_f16_sdwa v59, v20, s21 dst_sel:DWORD dst_unused:UNUSED_PAD src0_sel:WORD_1 src1_sel:DWORD
	v_add_f16_e32 v53, v65, v53
	v_fma_f16 v65, v61, s12, -v59
	v_add_f16_e32 v55, v65, v55
	v_mul_f16_e32 v65, 0x3b47, v20
	v_add_f16_e32 v42, v63, v42
	v_fma_f16 v66, v58, s12, v65
	v_add_f16_e32 v57, v66, v57
	v_alignbit_b32 v49, v49, v46, 16
	v_pack_b32_f16 v42, v42, v46
	s_barrier
	ds_write2_b32 v39, v42, v49 offset0:1 offset1:2
	v_pack_b32_f16 v42, v55, v57
	v_pack_b32_f16 v46, v51, v53
	v_pk_mul_f16 v41, v41, s18 op_sel_hi:[1,0]
	ds_write2_b32 v39, v46, v42 offset0:3 offset1:4
	v_pk_fma_f16 v42, v12, s25, v41 op_sel:[0,0,1] op_sel_hi:[1,0,0] neg_lo:[1,0,0] neg_hi:[1,0,0]
	v_alignbit_b32 v45, s0, v10, 16
	v_alignbit_b32 v46, s0, v42, 16
	v_pk_fma_f16 v12, v12, s25, v41 op_sel:[0,0,1] op_sel_hi:[1,0,0]
	v_pk_mul_f16 v41, v56, s10 op_sel_hi:[1,0]
	v_pk_add_f16 v46, v10, v46
	v_pk_add_f16 v10, v10, v12 op_sel:[1,0] op_sel_hi:[0,1]
	v_pk_add_f16 v12, v45, v42
	v_pk_fma_f16 v42, v14, s29, v41 op_sel:[0,0,1] op_sel_hi:[1,0,0] neg_lo:[1,0,0] neg_hi:[1,0,0]
	v_pk_fma_f16 v14, v14, s29, v41 op_sel:[0,0,1] op_sel_hi:[1,0,0]
	v_pk_add_f16 v10, v14, v10
	v_pk_mul_f16 v14, v54, s15 op_sel_hi:[1,0]
	v_pk_fma_f16 v41, v16, s14, v14 op_sel:[0,0,1] op_sel_hi:[1,0,0] neg_lo:[1,0,0] neg_hi:[1,0,0]
	v_pk_fma_f16 v14, v16, s14, v14 op_sel:[0,0,1] op_sel_hi:[1,0,0]
	v_pk_add_f16 v10, v14, v10
	v_pk_mul_f16 v14, v52, s12 op_sel_hi:[1,0]
	v_alignbit_b32 v45, s0, v42, 16
	v_pk_add_f16 v12, v42, v12
	v_pk_fma_f16 v16, v18, s21, v14 op_sel:[0,0,1] op_sel_hi:[1,0,0] neg_lo:[1,0,0] neg_hi:[1,0,0]
	v_pk_fma_f16 v14, v18, s21, v14 op_sel:[0,0,1] op_sel_hi:[1,0,0]
	v_pk_add_f16 v45, v45, v46
	v_alignbit_b32 v42, s0, v41, 16
	v_pk_add_f16 v12, v41, v12
	v_pk_add_f16 v10, v14, v10
	v_pk_mul_f16 v14, v61, s13 op_sel_hi:[1,0]
	v_pk_add_f16 v42, v42, v45
	v_alignbit_b32 v41, s0, v16, 16
	v_pk_add_f16 v12, v16, v12
	v_pk_fma_f16 v16, v20, s11, v14 op_sel:[0,0,1] op_sel_hi:[1,0,0] neg_lo:[1,0,0] neg_hi:[1,0,0]
	v_pk_add_f16 v41, v41, v42
	v_alignbit_b32 v18, s0, v16, 16
	v_pk_fma_f16 v14, v20, s11, v14 op_sel:[0,0,1] op_sel_hi:[1,0,0]
	v_fma_f16 v59, v61, s12, v59
	v_fma_f16 v58, v58, s12, -v65
	v_pk_add_f16 v18, v18, v41
	v_pk_add_f16 v10, v14, v10
	;; [unrolled: 1-line block ×3, first 2 shown]
	v_add_f16_e32 v50, v59, v50
	v_add_f16_e32 v47, v58, v47
	v_alignbit_b32 v12, v12, v10, 16
	v_pack_b32_f16 v10, v18, v10
	v_pk_mul_f16 v63, v20, s34
	ds_write2_b32 v39, v10, v12 offset0:5 offset1:6
	v_pack_b32_f16 v10, v50, v47
	ds_write2_b32 v39, v40, v10 offset1:7
	v_pack_b32_f16 v10, v62, v24
	v_bfi_b32 v12, s6, v48, v63
	v_add_f16_e32 v44, v64, v44
	v_mul_f16_e32 v64, 0xba0c, v20
	v_pk_add_f16 v10, v10, v12
	v_lshlrev_b32_e32 v12, 16, v28
	v_pk_add_f16 v14, v60, v64 neg_lo:[0,1] neg_hi:[0,1]
	v_pk_add_f16 v12, v26, v12
	v_bfi_b32 v12, s6, v14, v12
	v_pk_add_f16 v10, v12, v10
	v_alignbit_b32 v12, v30, v10, 16
	v_pack_b32_f16 v10, v43, v10
	ds_write2_b32 v39, v10, v12 offset0:8 offset1:9
	v_pack_b32_f16 v10, v22, v44
	ds_write_b32 v39, v10 offset:40
	s_and_saveexec_b64 s[4:5], vcc
	s_cbranch_execz .LBB0_19
; %bb.18:
	v_pk_add_f16 v12, v11, v13
	v_pk_add_f16 v12, v12, v15
	;; [unrolled: 1-line block ×7, first 2 shown]
	v_pk_add_f16 v13, v13, v31 neg_lo:[0,1] neg_hi:[0,1]
	v_pk_add_f16 v12, v12, v25
	v_pk_add_f16 v16, v29, v15
	v_pk_add_f16 v15, v15, v29 neg_lo:[0,1] neg_hi:[0,1]
	v_pk_add_f16 v22, v23, v21
	v_pk_add_f16 v21, v21, v23 neg_lo:[0,1] neg_hi:[0,1]
	v_mul_f16_e32 v23, 0xba0c, v13
	v_lshrrev_b32_e32 v24, 16, v14
	v_pk_add_f16 v12, v12, v27
	v_pk_add_f16 v18, v27, v17
	v_pk_add_f16 v17, v17, v27 neg_lo:[0,1] neg_hi:[0,1]
	v_pk_add_f16 v20, v25, v19
	v_pk_add_f16 v19, v19, v25 neg_lo:[0,1] neg_hi:[0,1]
	v_fma_f16 v25, v24, s15, v23
	v_mul_f16_e32 v26, 0x3beb, v15
	v_lshrrev_b32_e32 v27, 16, v16
	v_add_f16_sdwa v25, v11, v25 dst_sel:DWORD dst_unused:UNUSED_PAD src0_sel:WORD_1 src1_sel:DWORD
	v_fma_f16 v28, v27, s13, v26
	v_pk_add_f16 v12, v12, v29
	v_add_f16_e32 v25, v28, v25
	v_mul_f16_e32 v28, 0xb853, v17
	v_lshrrev_b32_e32 v29, 16, v18
	v_fma_f16 v30, v29, s10, v28
	v_pk_add_f16 v12, v12, v31
	v_add_f16_e32 v25, v30, v25
	v_mul_f16_e32 v30, 0xb482, v19
	v_lshrrev_b32_e32 v31, 16, v20
	v_fma_f16 v39, v31, s18, v30
	v_add_f16_e32 v25, v39, v25
	v_mul_f16_e32 v39, 0x3b47, v21
	v_lshrrev_b32_e32 v40, 16, v22
	v_fma_f16 v41, v40, s12, v39
	v_add_f16_e32 v25, v41, v25
	v_mul_f16_sdwa v41, v13, s14 dst_sel:DWORD dst_unused:UNUSED_PAD src0_sel:WORD_1 src1_sel:DWORD
	v_fma_f16 v42, v14, s15, -v41
	v_mul_f16_sdwa v43, v15, s28 dst_sel:DWORD dst_unused:UNUSED_PAD src0_sel:WORD_1 src1_sel:DWORD
	v_add_f16_e32 v42, v11, v42
	v_fma_f16 v44, v16, s13, -v43
	v_add_f16_e32 v42, v44, v42
	v_mul_f16_sdwa v44, v17, s16 dst_sel:DWORD dst_unused:UNUSED_PAD src0_sel:WORD_1 src1_sel:DWORD
	v_fma_f16 v45, v18, s10, -v44
	v_add_f16_e32 v42, v45, v42
	v_mul_f16_sdwa v45, v19, s25 dst_sel:DWORD dst_unused:UNUSED_PAD src0_sel:WORD_1 src1_sel:DWORD
	;; [unrolled: 3-line block ×3, first 2 shown]
	v_fma_f16 v47, v22, s12, -v46
	v_add_f16_e32 v42, v47, v42
	v_mul_f16_e32 v47, 0xbbeb, v13
	v_fma_f16 v48, v24, s13, v47
	v_mul_f16_e32 v49, 0x3482, v15
	v_add_f16_sdwa v48, v11, v48 dst_sel:DWORD dst_unused:UNUSED_PAD src0_sel:WORD_1 src1_sel:DWORD
	v_fma_f16 v50, v27, s18, v49
	v_add_f16_e32 v48, v50, v48
	v_mul_f16_e32 v50, 0x3b47, v17
	v_fma_f16 v51, v29, s12, v50
	v_add_f16_e32 v48, v51, v48
	v_mul_f16_e32 v51, 0xb853, v19
	v_fma_f16 v52, v31, s10, v51
	v_mul_f16_e32 v53, 0xb93d, v40
	v_add_f16_e32 v48, v52, v48
	v_fma_f16 v54, v21, s14, v53
	v_add_f16_e32 v48, v54, v48
	v_mul_f16_sdwa v54, v13, s11 dst_sel:DWORD dst_unused:UNUSED_PAD src0_sel:WORD_1 src1_sel:DWORD
	v_fma_f16 v55, v14, s13, -v54
	v_mul_f16_sdwa v56, v15, s24 dst_sel:DWORD dst_unused:UNUSED_PAD src0_sel:WORD_1 src1_sel:DWORD
	v_add_f16_e32 v55, v11, v55
	v_fma_f16 v57, v16, s18, -v56
	v_add_f16_e32 v55, v57, v55
	v_mul_f16_sdwa v57, v17, s21 dst_sel:DWORD dst_unused:UNUSED_PAD src0_sel:WORD_1 src1_sel:DWORD
	v_fma_f16 v58, v18, s12, -v57
	v_add_f16_e32 v55, v58, v55
	v_mul_f16_sdwa v58, v19, s16 dst_sel:DWORD dst_unused:UNUSED_PAD src0_sel:WORD_1 src1_sel:DWORD
	v_fma_f16 v59, v20, s10, -v58
	v_add_f16_e32 v55, v59, v55
	v_mul_f16_sdwa v59, v21, s14 dst_sel:DWORD dst_unused:UNUSED_PAD src0_sel:WORD_1 src1_sel:DWORD
	v_fma_f16 v60, v22, s15, -v59
	v_add_f16_e32 v55, v60, v55
	v_mul_f16_e32 v60, 0xbb47, v13
	v_fma_f16 v61, v24, s12, v60
	v_mul_f16_e32 v62, 0xba0c, v15
	v_add_f16_sdwa v61, v11, v61 dst_sel:DWORD dst_unused:UNUSED_PAD src0_sel:WORD_1 src1_sel:DWORD
	v_fma_f16 v63, v27, s15, v62
	v_add_f16_e32 v61, v63, v61
	v_mul_f16_e32 v63, 0x3482, v17
	v_fma_f16 v64, v29, s18, v63
	v_add_f16_e32 v61, v64, v61
	v_mul_f16_e32 v64, 0x3beb, v19
	;; [unrolled: 3-line block ×3, first 2 shown]
	v_fma_f16 v66, v40, s10, v65
	v_add_f16_e32 v61, v66, v61
	v_pk_mul_f16 v66, v14, s19
	v_pk_fma_f16 v67, v13, s20, v66 op_sel:[0,0,1] op_sel_hi:[1,1,0]
	v_pk_fma_f16 v66, v13, s20, v66 op_sel:[0,0,1] op_sel_hi:[1,1,0] neg_lo:[1,0,0] neg_hi:[1,0,0]
	v_pk_mul_f16 v69, v16, s22
	v_bfi_b32 v68, s6, v67, v66
	v_pk_fma_f16 v70, v15, s23, v69 op_sel:[0,0,1] op_sel_hi:[1,1,0]
	v_pk_fma_f16 v69, v15, s23, v69 op_sel:[0,0,1] op_sel_hi:[1,1,0] neg_lo:[1,0,0] neg_hi:[1,0,0]
	v_fma_f16 v23, v24, s15, -v23
	v_pk_add_f16 v68, v11, v68 op_sel:[1,0] op_sel_hi:[0,1]
	v_bfi_b32 v71, s6, v70, v69
	v_add_f16_sdwa v23, v11, v23 dst_sel:DWORD dst_unused:UNUSED_PAD src0_sel:WORD_1 src1_sel:DWORD
	v_fma_f16 v26, v27, s13, -v26
	v_pk_add_f16 v68, v71, v68
	v_pk_mul_f16 v71, v18, s26
	v_add_f16_e32 v23, v26, v23
	v_fma_f16 v26, v29, s10, -v28
	v_pk_fma_f16 v72, v17, s27, v71 op_sel:[0,0,1] op_sel_hi:[1,1,0]
	v_pk_fma_f16 v71, v17, s27, v71 op_sel:[0,0,1] op_sel_hi:[1,1,0] neg_lo:[1,0,0] neg_hi:[1,0,0]
	v_add_f16_e32 v23, v26, v23
	v_fma_f16 v26, v31, s18, -v30
	v_bfi_b32 v73, s6, v72, v71
	v_add_f16_e32 v23, v26, v23
	v_fma_f16 v26, v40, s12, -v39
	v_pk_add_f16 v68, v73, v68
	v_pk_mul_f16 v73, v20, s30
	v_add_f16_e32 v23, v26, v23
	v_fma_f16 v26, v14, s15, v41
	v_pk_fma_f16 v74, v19, s31, v73 op_sel:[0,0,1] op_sel_hi:[1,1,0]
	v_pk_fma_f16 v73, v19, s31, v73 op_sel:[0,0,1] op_sel_hi:[1,1,0] neg_lo:[1,0,0] neg_hi:[1,0,0]
	v_pk_mul_f16 v76, v22, s33
	v_add_f16_e32 v26, v11, v26
	v_fma_f16 v28, v16, s13, v43
	v_bfi_b32 v75, s6, v74, v73
	v_pk_fma_f16 v77, v21, s34, v76 op_sel:[0,0,1] op_sel_hi:[1,1,0]
	v_pk_fma_f16 v78, v21, s34, v76 op_sel:[0,0,1] op_sel_hi:[1,1,0] neg_lo:[1,0,0] neg_hi:[1,0,0]
	v_add_f16_e32 v26, v28, v26
	v_fma_f16 v28, v18, s10, v44
	v_pk_add_f16 v68, v75, v68
	v_bfi_b32 v77, s6, v77, v78
	v_add_f16_e32 v26, v28, v26
	v_fma_f16 v28, v20, s18, v45
	v_pk_add_f16 v68, v77, v68
	v_mul_f16_sdwa v77, v13, s16 dst_sel:DWORD dst_unused:UNUSED_PAD src0_sel:WORD_1 src1_sel:DWORD
	v_add_f16_e32 v26, v28, v26
	v_fma_f16 v28, v22, s12, v46
	v_fma_f16 v79, v14, s10, -v77
	v_mul_f16_sdwa v80, v15, s17 dst_sel:DWORD dst_unused:UNUSED_PAD src0_sel:WORD_1 src1_sel:DWORD
	v_add_f16_e32 v26, v28, v26
	v_fma_f16 v28, v24, s13, -v47
	v_fma_f16 v39, v14, s13, v54
	v_fma_f16 v24, v24, s12, -v60
	v_add_f16_e32 v79, v11, v79
	v_fma_f16 v81, v16, s12, -v80
	v_fma_f16 v30, v27, s18, -v49
	v_add_f16_e32 v39, v11, v39
	v_fma_f16 v41, v16, s18, v56
	v_add_f16_sdwa v24, v11, v24 dst_sel:DWORD dst_unused:UNUSED_PAD src0_sel:WORD_1 src1_sel:DWORD
	v_fma_f16 v27, v27, s15, -v62
	v_add_f16_e32 v79, v81, v79
	v_mul_f16_sdwa v81, v17, s11 dst_sel:DWORD dst_unused:UNUSED_PAD src0_sel:WORD_1 src1_sel:DWORD
	v_add_f16_e32 v39, v41, v39
	v_fma_f16 v41, v18, s12, v57
	v_add_f16_e32 v24, v27, v24
	v_fma_f16 v27, v29, s18, -v63
	v_fma_f16 v82, v18, s13, -v81
	v_add_f16_e32 v39, v41, v39
	v_fma_f16 v41, v20, s10, v58
	v_add_f16_e32 v24, v27, v24
	v_fma_f16 v27, v31, s13, -v64
	v_add_f16_e32 v79, v82, v79
	v_mul_f16_sdwa v82, v19, s14 dst_sel:DWORD dst_unused:UNUSED_PAD src0_sel:WORD_1 src1_sel:DWORD
	v_add_f16_e32 v39, v41, v39
	v_fma_f16 v41, v22, s15, v59
	v_add_f16_e32 v24, v27, v24
	v_fma_f16 v27, v40, s10, -v65
	v_fma_f16 v40, v14, s10, v77
	v_fma_f16 v83, v20, s15, -v82
	v_add_f16_e32 v39, v41, v39
	v_add_f16_e32 v40, v11, v40
	v_fma_f16 v41, v16, s12, v80
	v_add_f16_e32 v79, v83, v79
	v_mul_f16_sdwa v83, v21, s25 dst_sel:DWORD dst_unused:UNUSED_PAD src0_sel:WORD_1 src1_sel:DWORD
	v_add_f16_e32 v40, v41, v40
	v_fma_f16 v41, v18, s13, v81
	v_mul_u32_u24_e32 v10, 40, v8
	v_fma_f16 v84, v22, s18, -v83
	v_add_f16_e32 v40, v41, v40
	v_fma_f16 v41, v20, s15, v82
	v_add_u32_e32 v10, v1, v10
	v_add_f16_e32 v79, v84, v79
	v_add_f16_e32 v40, v41, v40
	v_fma_f16 v41, v22, s18, v83
	v_add_f16_e32 v40, v41, v40
	v_add_u32_e32 v41, 0x1108, v10
	v_alignbit_b32 v43, v61, v68, 16
	v_pack_b32_f16 v44, v79, v68
	ds_write2_b32 v41, v44, v43 offset1:1
	v_add_u32_e32 v41, 0x1110, v10
	v_pack_b32_f16 v25, v42, v25
	v_pack_b32_f16 v42, v55, v48
	v_pk_mul_f16 v14, v14, s18 op_sel_hi:[1,0]
	ds_write2_b32 v41, v42, v25 offset1:1
	v_pk_fma_f16 v25, v13, s25, v14 op_sel:[0,0,1] op_sel_hi:[1,0,0] neg_lo:[1,0,0] neg_hi:[1,0,0]
	v_pk_mul_f16 v16, v16, s10 op_sel_hi:[1,0]
	v_pk_fma_f16 v13, v13, s25, v14 op_sel:[0,0,1] op_sel_hi:[1,0,0]
	v_pk_mul_f16 v18, v18, s15 op_sel_hi:[1,0]
	v_pk_add_f16 v13, v11, v13 op_sel:[1,0] op_sel_hi:[0,1]
	v_pk_fma_f16 v14, v15, s29, v16 op_sel:[0,0,1] op_sel_hi:[1,0,0]
	v_add_f16_sdwa v28, v11, v28 dst_sel:DWORD dst_unused:UNUSED_PAD src0_sel:WORD_1 src1_sel:DWORD
	v_add_f16_e32 v24, v27, v24
	v_alignbit_b32 v27, s0, v67, 16
	v_pk_mul_f16 v20, v20, s12 op_sel_hi:[1,0]
	v_pk_add_f16 v13, v14, v13
	v_pk_fma_f16 v14, v17, s14, v18 op_sel:[0,0,1] op_sel_hi:[1,0,0]
	v_add_f16_e32 v28, v30, v28
	v_fma_f16 v30, v29, s12, -v50
	v_pk_add_f16 v27, v11, v27
	v_alignbit_b32 v29, s0, v70, 16
	v_pk_mul_f16 v22, v22, s13 op_sel_hi:[1,0]
	v_pk_add_f16 v13, v14, v13
	v_pk_fma_f16 v14, v19, s21, v20 op_sel:[0,0,1] op_sel_hi:[1,0,0]
	v_pk_add_f16 v27, v29, v27
	v_alignbit_b32 v29, s0, v72, 16
	v_pk_add_f16 v13, v14, v13
	v_pk_fma_f16 v14, v21, s11, v22 op_sel:[0,0,1] op_sel_hi:[1,0,0]
	v_pk_add_f16 v27, v29, v27
	v_alignbit_b32 v29, s0, v11, 16
	v_pk_fma_f16 v41, v15, s29, v16 op_sel:[0,0,1] op_sel_hi:[1,0,0] neg_lo:[1,0,0] neg_hi:[1,0,0]
	v_pk_add_f16 v13, v14, v13
	v_alignbit_b32 v14, s0, v25, 16
	v_add_f16_e32 v28, v30, v28
	v_fma_f16 v30, v31, s10, -v51
	v_add_f16_sdwa v31, v11, v66 dst_sel:DWORD dst_unused:UNUSED_PAD src0_sel:WORD_1 src1_sel:DWORD
	v_pk_add_f16 v29, v29, v25
	v_pk_fma_f16 v42, v17, s14, v18 op_sel:[0,0,1] op_sel_hi:[1,0,0] neg_lo:[1,0,0] neg_hi:[1,0,0]
	v_pk_add_f16 v11, v11, v14
	v_alignbit_b32 v14, s0, v41, 16
	v_pk_add_f16 v29, v41, v29
	v_pk_fma_f16 v43, v19, s21, v20 op_sel:[0,0,1] op_sel_hi:[1,0,0] neg_lo:[1,0,0] neg_hi:[1,0,0]
	v_pk_add_f16 v11, v14, v11
	v_alignbit_b32 v14, s0, v42, 16
	;; [unrolled: 4-line block ×3, first 2 shown]
	v_pk_add_f16 v29, v43, v29
	v_pk_add_f16 v11, v14, v11
	v_alignbit_b32 v14, s0, v44, 16
	v_pk_add_f16 v29, v44, v29
	v_pk_add_f16 v11, v14, v11
	v_add_u32_e32 v14, 0x1118, v10
	v_alignbit_b32 v15, v29, v13, 16
	v_pack_b32_f16 v11, v11, v13
	ds_write2_b32 v14, v11, v15 offset1:1
	v_pack_b32_f16 v11, v26, v23
	v_add_u32_e32 v13, 0x1000, v10
	v_mul_f16_e32 v52, 0xba0c, v21
	ds_write2_b32 v13, v12, v11 offset0:65 offset1:72
	v_lshlrev_b32_e32 v12, 16, v27
	v_pk_mul_f16 v75, v21, s34
	v_pk_add_f16 v13, v53, v52 neg_lo:[0,1] neg_hi:[0,1]
	v_pk_add_f16 v12, v74, v12
	v_add_f16_e32 v31, v69, v31
	v_bfi_b32 v12, s6, v13, v12
	v_pack_b32_f16 v13, v30, v76
	v_bfi_b32 v14, s6, v28, v75
	v_add_f16_e32 v31, v71, v31
	v_pk_add_f16 v13, v13, v14
	v_add_f16_e32 v31, v73, v31
	v_pk_add_f16 v12, v12, v13
	v_add_f16_e32 v31, v78, v31
	v_add_u32_e32 v11, 0x1124, v10
	v_alignbit_b32 v13, v24, v12, 16
	v_pack_b32_f16 v12, v39, v12
	ds_write2_b32 v11, v12, v13 offset1:1
	v_pack_b32_f16 v11, v40, v31
	ds_write_b32 v10, v11 offset:4396
.LBB0_19:
	s_or_b64 exec, exec, s[4:5]
	s_movk_i32 s4, 0x75
	v_mul_lo_u16_sdwa v10, v8, s4 dst_sel:DWORD dst_unused:UNUSED_PAD src0_sel:BYTE_0 src1_sel:DWORD
	v_sub_u16_sdwa v12, v8, v10 dst_sel:DWORD dst_unused:UNUSED_PAD src0_sel:DWORD src1_sel:BYTE_1
	v_lshrrev_b16_e32 v12, 1, v12
	v_add_u32_e32 v11, 0x63, v8
	v_and_b32_e32 v12, 0x7f, v12
	v_add_u16_sdwa v10, v12, v10 dst_sel:DWORD dst_unused:UNUSED_PAD src0_sel:DWORD src1_sel:BYTE_1
	v_mul_lo_u16_sdwa v12, v11, s4 dst_sel:DWORD dst_unused:UNUSED_PAD src0_sel:BYTE_0 src1_sel:DWORD
	v_sub_u16_sdwa v13, v11, v12 dst_sel:DWORD dst_unused:UNUSED_PAD src0_sel:DWORD src1_sel:BYTE_1
	v_lshrrev_b16_e32 v53, 3, v10
	v_lshrrev_b16_e32 v13, 1, v13
	v_mul_lo_u16_e32 v10, 11, v53
	v_and_b32_e32 v13, 0x7f, v13
	v_sub_u16_e32 v54, v8, v10
	v_mov_b32_e32 v55, 3
	v_add_u16_sdwa v12, v13, v12 dst_sel:DWORD dst_unused:UNUSED_PAD src0_sel:DWORD src1_sel:BYTE_1
	v_lshlrev_b32_sdwa v10, v55, v54 dst_sel:DWORD dst_unused:UNUSED_PAD src0_sel:DWORD src1_sel:BYTE_0
	v_lshrrev_b16_e32 v56, 3, v12
	s_waitcnt lgkmcnt(0)
	s_barrier
	global_load_dwordx2 v[16:17], v10, s[8:9]
	v_mul_lo_u16_e32 v10, 11, v56
	v_sub_u16_e32 v57, v11, v10
	v_lshlrev_b32_sdwa v10, v55, v57 dst_sel:DWORD dst_unused:UNUSED_PAD src0_sel:DWORD src1_sel:BYTE_0
	v_add_u32_e32 v12, 0xc6, v8
	s_mov_b32 s4, 0xba2f
	global_load_dwordx2 v[18:19], v10, s[8:9]
	v_mul_u32_u24_sdwa v10, v12, s4 dst_sel:DWORD dst_unused:UNUSED_PAD src0_sel:WORD_0 src1_sel:DWORD
	v_lshrrev_b32_e32 v58, 19, v10
	v_mul_lo_u16_e32 v10, 11, v58
	v_sub_u16_e32 v59, v12, v10
	v_lshlrev_b32_e32 v10, 3, v59
	v_add_u32_e32 v13, 0x129, v8
	global_load_dwordx2 v[20:21], v10, s[8:9]
	v_mul_u32_u24_sdwa v10, v13, s4 dst_sel:DWORD dst_unused:UNUSED_PAD src0_sel:WORD_0 src1_sel:DWORD
	v_lshrrev_b32_e32 v60, 19, v10
	v_mul_lo_u16_e32 v10, 11, v60
	v_sub_u16_e32 v61, v13, v10
	v_lshlrev_b32_e32 v10, 3, v61
	v_add_u32_e32 v14, 0x18c, v8
	;; [unrolled: 7-line block ×3, first 2 shown]
	global_load_dwordx2 v[24:25], v10, s[8:9]
	v_mul_u32_u24_sdwa v10, v15, s4 dst_sel:DWORD dst_unused:UNUSED_PAD src0_sel:WORD_0 src1_sel:DWORD
	v_lshrrev_b32_e32 v64, 19, v10
	v_mul_lo_u16_e32 v10, 11, v64
	v_sub_u16_e32 v65, v15, v10
	v_lshlrev_b32_e32 v10, 3, v65
	global_load_dwordx2 v[26:27], v10, s[8:9]
	ds_read2_b32 v[28:29], v1 offset1:99
	ds_read2_b32 v[30:31], v34 offset0:82 offset1:181
	v_add_u32_e32 v10, 0x1200, v1
	ds_read2_b32 v[39:40], v32 offset0:70 offset1:169
	ds_read2_b32 v[41:42], v35 offset0:24 offset1:123
	;; [unrolled: 1-line block ×7, first 2 shown]
	s_waitcnt lgkmcnt(5)
	v_lshrrev_b32_e32 v69, 16, v41
	s_waitcnt lgkmcnt(4)
	v_lshrrev_b32_e32 v70, 16, v43
	v_lshrrev_b32_e32 v80, 16, v30
	;; [unrolled: 1-line block ×3, first 2 shown]
	s_waitcnt lgkmcnt(0)
	v_lshrrev_b32_e32 v82, 16, v52
	v_lshrrev_b32_e32 v72, 16, v42
	;; [unrolled: 1-line block ×9, first 2 shown]
	s_movk_i32 s4, 0x3aee
	s_mov_b32 s5, 0xbaee
	v_lshrrev_b32_e32 v67, 16, v29
	v_lshrrev_b32_e32 v68, 16, v39
	;; [unrolled: 1-line block ×5, first 2 shown]
	s_waitcnt vmcnt(0)
	s_barrier
	s_movk_i32 s10, 0xf9
	v_mul_f16_sdwa v84, v16, v80 dst_sel:DWORD dst_unused:UNUSED_PAD src0_sel:WORD_1 src1_sel:DWORD
	v_mul_f16_sdwa v85, v16, v30 dst_sel:DWORD dst_unused:UNUSED_PAD src0_sel:WORD_1 src1_sel:DWORD
	v_fma_f16 v30, v16, v30, -v84
	v_fma_f16 v16, v16, v80, v85
	v_mul_f16_sdwa v86, v17, v83 dst_sel:DWORD dst_unused:UNUSED_PAD src0_sel:WORD_1 src1_sel:DWORD
	v_mul_f16_sdwa v87, v17, v51 dst_sel:DWORD dst_unused:UNUSED_PAD src0_sel:WORD_1 src1_sel:DWORD
	;; [unrolled: 1-line block ×3, first 2 shown]
	v_fma_f16 v80, v18, v31, -v88
	v_mul_f16_sdwa v31, v18, v31 dst_sel:DWORD dst_unused:UNUSED_PAD src0_sel:WORD_1 src1_sel:DWORD
	v_fma_f16 v18, v18, v81, v31
	v_mul_f16_sdwa v31, v82, v19 dst_sel:DWORD dst_unused:UNUSED_PAD src0_sel:DWORD src1_sel:WORD_1
	v_fma_f16 v31, v52, v19, -v31
	v_mul_f16_sdwa v52, v52, v19 dst_sel:DWORD dst_unused:UNUSED_PAD src0_sel:DWORD src1_sel:WORD_1
	v_fma_f16 v19, v82, v19, v52
	v_mul_f16_sdwa v52, v69, v20 dst_sel:DWORD dst_unused:UNUSED_PAD src0_sel:DWORD src1_sel:WORD_1
	v_fma_f16 v52, v41, v20, -v52
	v_mul_f16_sdwa v41, v41, v20 dst_sel:DWORD dst_unused:UNUSED_PAD src0_sel:DWORD src1_sel:WORD_1
	;; [unrolled: 4-line block ×8, first 2 shown]
	v_fma_f16 v51, v17, v51, -v86
	v_fma_f16 v26, v78, v26, v48
	v_mul_f16_sdwa v48, v79, v27 dst_sel:DWORD dst_unused:UNUSED_PAD src0_sel:DWORD src1_sel:WORD_1
	v_fma_f16 v17, v17, v83, v87
	v_fma_f16 v48, v50, v27, -v48
	v_mul_f16_sdwa v50, v50, v27 dst_sel:DWORD dst_unused:UNUSED_PAD src0_sel:DWORD src1_sel:WORD_1
	v_add_f16_e32 v69, v30, v51
	v_fma_f16 v27, v79, v27, v50
	v_add_f16_e32 v50, v28, v30
	v_fma_f16 v28, v69, -0.5, v28
	v_sub_f16_e32 v69, v16, v17
	v_fma_f16 v70, v69, s4, v28
	v_fma_f16 v28, v69, s5, v28
	v_add_f16_e32 v69, v66, v16
	v_add_f16_e32 v16, v16, v17
	;; [unrolled: 1-line block ×4, first 2 shown]
	v_fma_f16 v16, v16, -0.5, v66
	v_sub_f16_e32 v17, v30, v51
	v_add_f16_e32 v51, v80, v31
	v_fma_f16 v30, v17, s5, v16
	v_fma_f16 v16, v17, s4, v16
	v_add_f16_e32 v17, v29, v80
	v_fma_f16 v29, v51, -0.5, v29
	v_sub_f16_e32 v51, v18, v19
	v_fma_f16 v66, v51, s4, v29
	v_fma_f16 v29, v51, s5, v29
	v_add_f16_e32 v51, v67, v18
	v_add_f16_e32 v18, v18, v19
	v_add_f16_e32 v51, v51, v19
	v_fma_f16 v18, v18, -0.5, v67
	v_sub_f16_e32 v19, v80, v31
	v_add_f16_e32 v67, v52, v41
	v_add_f16_e32 v17, v17, v31
	v_fma_f16 v31, v19, s5, v18
	v_fma_f16 v18, v19, s4, v18
	v_add_f16_e32 v19, v39, v52
	v_fma_f16 v39, v67, -0.5, v39
	v_sub_f16_e32 v67, v20, v21
	v_fma_f16 v72, v67, s4, v39
	v_fma_f16 v39, v67, s5, v39
	v_add_f16_e32 v67, v68, v20
	v_add_f16_e32 v20, v20, v21
	v_add_f16_e32 v67, v67, v21
	v_fma_f16 v20, v20, -0.5, v68
	v_sub_f16_e32 v21, v52, v41
	v_add_f16_e32 v52, v43, v42
	;; [unrolled: 14-line block ×3, first 2 shown]
	v_add_f16_e32 v21, v21, v42
	v_fma_f16 v42, v23, s5, v22
	v_fma_f16 v22, v23, s4, v22
	v_add_f16_e32 v23, v45, v44
	v_fma_f16 v43, v43, -0.5, v45
	v_sub_f16_e32 v45, v24, v25
	v_fma_f16 v71, v45, s4, v43
	v_fma_f16 v43, v45, s5, v43
	v_add_f16_e32 v45, v74, v24
	v_add_f16_e32 v24, v24, v25
	v_add_f16_e32 v23, v23, v47
	v_add_f16_e32 v45, v45, v25
	v_fma_f16 v24, v24, -0.5, v74
	v_sub_f16_e32 v25, v44, v47
	v_add_f16_e32 v47, v49, v48
	v_fma_f16 v44, v25, s5, v24
	v_fma_f16 v24, v25, s4, v24
	v_add_f16_e32 v25, v46, v49
	v_fma_f16 v46, v47, -0.5, v46
	v_sub_f16_e32 v47, v26, v27
	v_fma_f16 v73, v47, s4, v46
	v_fma_f16 v46, v47, s5, v46
	v_add_f16_e32 v47, v77, v26
	v_add_f16_e32 v26, v26, v27
	;; [unrolled: 1-line block ×3, first 2 shown]
	v_fma_f16 v26, v26, -0.5, v77
	v_sub_f16_e32 v27, v49, v48
	v_add_f16_e32 v25, v25, v48
	v_fma_f16 v48, v27, s5, v26
	v_fma_f16 v26, v27, s4, v26
	v_mul_u32_u24_e32 v27, 0x84, v53
	v_mov_b32_e32 v53, 2
	v_lshlrev_b32_sdwa v49, v53, v54 dst_sel:DWORD dst_unused:UNUSED_PAD src0_sel:DWORD src1_sel:BYTE_0
	v_add3_u32 v27, 0, v27, v49
	v_pack_b32_f16 v49, v50, v69
	v_pack_b32_f16 v30, v70, v30
	;; [unrolled: 1-line block ×3, first 2 shown]
	ds_write2_b32 v27, v49, v30 offset1:11
	ds_write_b32 v27, v16 offset:88
	v_mul_u32_u24_e32 v16, 0x84, v56
	v_lshlrev_b32_sdwa v27, v53, v57 dst_sel:DWORD dst_unused:UNUSED_PAD src0_sel:DWORD src1_sel:BYTE_0
	v_add3_u32 v16, 0, v16, v27
	v_pack_b32_f16 v17, v17, v51
	v_pack_b32_f16 v27, v66, v31
	ds_write2_b32 v16, v17, v27 offset1:11
	v_pack_b32_f16 v17, v29, v18
	ds_write_b32 v16, v17 offset:88
	v_mul_u32_u24_e32 v16, 0x84, v58
	v_lshlrev_b32_e32 v17, 2, v59
	v_add3_u32 v16, 0, v16, v17
	v_pack_b32_f16 v17, v19, v67
	v_pack_b32_f16 v18, v72, v41
	ds_write2_b32 v16, v17, v18 offset1:11
	v_pack_b32_f16 v17, v39, v20
	ds_write_b32 v16, v17 offset:88
	v_mul_u32_u24_e32 v16, 0x84, v60
	v_lshlrev_b32_e32 v17, 2, v61
	;; [unrolled: 8-line block ×4, first 2 shown]
	v_add3_u32 v16, 0, v16, v17
	v_pack_b32_f16 v17, v25, v47
	v_pack_b32_f16 v18, v73, v48
	ds_write2_b32 v16, v17, v18 offset1:11
	v_pack_b32_f16 v17, v46, v26
	ds_write_b32 v16, v17 offset:88
	v_mul_lo_u16_sdwa v16, v8, s10 dst_sel:DWORD dst_unused:UNUSED_PAD src0_sel:BYTE_0 src1_sel:DWORD
	v_lshrrev_b16_e32 v54, 13, v16
	v_mul_lo_u16_e32 v16, 33, v54
	v_sub_u16_e32 v56, v8, v16
	v_lshlrev_b32_sdwa v16, v55, v56 dst_sel:DWORD dst_unused:UNUSED_PAD src0_sel:DWORD src1_sel:BYTE_0
	s_waitcnt lgkmcnt(0)
	s_barrier
	global_load_dwordx2 v[16:17], v16, s[8:9] offset:88
	v_mul_lo_u16_sdwa v18, v11, s10 dst_sel:DWORD dst_unused:UNUSED_PAD src0_sel:BYTE_0 src1_sel:DWORD
	v_lshrrev_b16_e32 v57, 13, v18
	v_mul_lo_u16_e32 v18, 33, v57
	v_sub_u16_e32 v58, v11, v18
	v_lshlrev_b32_sdwa v18, v55, v58 dst_sel:DWORD dst_unused:UNUSED_PAD src0_sel:DWORD src1_sel:BYTE_0
	global_load_dwordx2 v[18:19], v18, s[8:9] offset:88
	s_mov_b32 s10, 0xf83f
	v_mul_u32_u24_sdwa v20, v12, s10 dst_sel:DWORD dst_unused:UNUSED_PAD src0_sel:WORD_0 src1_sel:DWORD
	v_lshrrev_b32_e32 v55, 21, v20
	v_mul_lo_u16_e32 v20, 33, v55
	v_sub_u16_e32 v59, v12, v20
	v_lshlrev_b32_e32 v20, 3, v59
	global_load_dwordx2 v[20:21], v20, s[8:9] offset:88
	v_mul_u32_u24_sdwa v22, v13, s10 dst_sel:DWORD dst_unused:UNUSED_PAD src0_sel:WORD_0 src1_sel:DWORD
	v_lshrrev_b32_e32 v60, 21, v22
	v_mul_lo_u16_e32 v22, 33, v60
	v_sub_u16_e32 v61, v13, v22
	v_lshlrev_b32_e32 v22, 3, v61
	global_load_dwordx2 v[22:23], v22, s[8:9] offset:88
	v_mul_u32_u24_sdwa v24, v14, s10 dst_sel:DWORD dst_unused:UNUSED_PAD src0_sel:WORD_0 src1_sel:DWORD
	v_lshrrev_b32_e32 v62, 21, v24
	v_mul_lo_u16_e32 v24, 33, v62
	v_mul_u32_u24_sdwa v26, v15, s10 dst_sel:DWORD dst_unused:UNUSED_PAD src0_sel:WORD_0 src1_sel:DWORD
	v_sub_u16_e32 v63, v14, v24
	v_lshrrev_b32_e32 v64, 21, v26
	v_lshlrev_b32_e32 v24, 3, v63
	v_mul_lo_u16_e32 v26, 33, v64
	global_load_dwordx2 v[24:25], v24, s[8:9] offset:88
	v_sub_u16_e32 v65, v15, v26
	v_lshlrev_b32_e32 v26, 3, v65
	global_load_dwordx2 v[26:27], v26, s[8:9] offset:88
	ds_read2_b32 v[28:29], v1 offset1:99
	ds_read2_b32 v[30:31], v34 offset0:82 offset1:181
	ds_read2_b32 v[39:40], v32 offset0:70 offset1:169
	;; [unrolled: 1-line block ×5, first 2 shown]
	s_waitcnt lgkmcnt(4)
	v_lshrrev_b32_e32 v80, 16, v30
	ds_read2_b32 v[47:48], v33 offset0:140 offset1:239
	ds_read2_b32 v[49:50], v36 offset0:94 offset1:193
	ds_read2_b32 v[51:52], v38 offset0:48 offset1:147
	s_waitcnt lgkmcnt(5)
	v_lshrrev_b32_e32 v69, 16, v41
	s_waitcnt lgkmcnt(4)
	v_lshrrev_b32_e32 v70, 16, v43
	v_lshrrev_b32_e32 v72, 16, v42
	;; [unrolled: 1-line block ×3, first 2 shown]
	s_waitcnt lgkmcnt(1)
	v_lshrrev_b32_e32 v75, 16, v49
	s_waitcnt lgkmcnt(0)
	v_lshrrev_b32_e32 v76, 16, v51
	v_lshrrev_b32_e32 v78, 16, v50
	;; [unrolled: 1-line block ×9, first 2 shown]
	s_waitcnt vmcnt(0)
	s_barrier
	v_lshlrev_b32_e32 v8, 1, v8
	s_mov_b32 s10, 0xa57f
	v_mul_f16_sdwa v81, v16, v80 dst_sel:DWORD dst_unused:UNUSED_PAD src0_sel:WORD_1 src1_sel:DWORD
	v_fma_f16 v81, v16, v30, -v81
	v_mul_f16_sdwa v30, v16, v30 dst_sel:DWORD dst_unused:UNUSED_PAD src0_sel:WORD_1 src1_sel:DWORD
	v_fma_f16 v16, v16, v80, v30
	v_lshrrev_b32_e32 v30, 16, v45
	v_mul_f16_sdwa v80, v17, v30 dst_sel:DWORD dst_unused:UNUSED_PAD src0_sel:WORD_1 src1_sel:DWORD
	v_fma_f16 v80, v17, v45, -v80
	v_mul_f16_sdwa v45, v17, v45 dst_sel:DWORD dst_unused:UNUSED_PAD src0_sel:WORD_1 src1_sel:DWORD
	v_fma_f16 v17, v17, v30, v45
	v_lshrrev_b32_e32 v30, 16, v31
	;; [unrolled: 5-line block ×3, first 2 shown]
	v_mul_f16_sdwa v31, v19, v30 dst_sel:DWORD dst_unused:UNUSED_PAD src0_sel:WORD_1 src1_sel:DWORD
	v_fma_f16 v31, v19, v46, -v31
	v_mul_f16_sdwa v46, v19, v46 dst_sel:DWORD dst_unused:UNUSED_PAD src0_sel:WORD_1 src1_sel:DWORD
	v_fma_f16 v19, v19, v30, v46
	v_mul_f16_sdwa v30, v69, v20 dst_sel:DWORD dst_unused:UNUSED_PAD src0_sel:DWORD src1_sel:WORD_1
	v_fma_f16 v30, v41, v20, -v30
	v_mul_f16_sdwa v41, v41, v20 dst_sel:DWORD dst_unused:UNUSED_PAD src0_sel:DWORD src1_sel:WORD_1
	v_fma_f16 v20, v69, v20, v41
	v_mul_f16_sdwa v41, v70, v21 dst_sel:DWORD dst_unused:UNUSED_PAD src0_sel:DWORD src1_sel:WORD_1
	v_fma_f16 v41, v43, v21, -v41
	v_mul_f16_sdwa v43, v43, v21 dst_sel:DWORD dst_unused:UNUSED_PAD src0_sel:DWORD src1_sel:WORD_1
	;; [unrolled: 4-line block ×4, first 2 shown]
	v_fma_f16 v23, v73, v23, v44
	v_mul_f16_sdwa v44, v75, v24 dst_sel:DWORD dst_unused:UNUSED_PAD src0_sel:DWORD src1_sel:WORD_1
	v_mul_f16_sdwa v46, v49, v24 dst_sel:DWORD dst_unused:UNUSED_PAD src0_sel:DWORD src1_sel:WORD_1
	v_fma_f16 v44, v49, v24, -v44
	v_fma_f16 v24, v75, v24, v46
	v_mul_f16_sdwa v46, v76, v25 dst_sel:DWORD dst_unused:UNUSED_PAD src0_sel:DWORD src1_sel:WORD_1
	v_mul_f16_sdwa v49, v51, v25 dst_sel:DWORD dst_unused:UNUSED_PAD src0_sel:DWORD src1_sel:WORD_1
	v_fma_f16 v46, v51, v25, -v46
	v_fma_f16 v25, v76, v25, v49
	v_mul_f16_sdwa v49, v78, v26 dst_sel:DWORD dst_unused:UNUSED_PAD src0_sel:DWORD src1_sel:WORD_1
	v_fma_f16 v49, v50, v26, -v49
	v_mul_f16_sdwa v50, v50, v26 dst_sel:DWORD dst_unused:UNUSED_PAD src0_sel:DWORD src1_sel:WORD_1
	v_fma_f16 v26, v78, v26, v50
	v_mul_f16_sdwa v50, v79, v27 dst_sel:DWORD dst_unused:UNUSED_PAD src0_sel:DWORD src1_sel:WORD_1
	v_fma_f16 v50, v52, v27, -v50
	v_mul_f16_sdwa v51, v52, v27 dst_sel:DWORD dst_unused:UNUSED_PAD src0_sel:DWORD src1_sel:WORD_1
	v_add_f16_e32 v52, v81, v80
	v_fma_f16 v27, v79, v27, v51
	v_add_f16_e32 v51, v28, v81
	v_fma_f16 v28, v52, -0.5, v28
	v_sub_f16_e32 v52, v16, v17
	v_fma_f16 v69, v52, s4, v28
	v_fma_f16 v28, v52, s5, v28
	v_add_f16_e32 v52, v66, v16
	v_add_f16_e32 v16, v16, v17
	;; [unrolled: 1-line block ×3, first 2 shown]
	v_fma_f16 v16, v16, -0.5, v66
	v_sub_f16_e32 v17, v81, v80
	v_add_f16_e32 v70, v45, v31
	v_fma_f16 v66, v17, s5, v16
	v_fma_f16 v16, v17, s4, v16
	v_add_f16_e32 v17, v29, v45
	v_fma_f16 v29, v70, -0.5, v29
	v_sub_f16_e32 v70, v18, v19
	v_fma_f16 v72, v70, s4, v29
	v_fma_f16 v29, v70, s5, v29
	v_add_f16_e32 v70, v67, v18
	v_add_f16_e32 v18, v18, v19
	;; [unrolled: 1-line block ×3, first 2 shown]
	v_fma_f16 v18, v18, -0.5, v67
	v_sub_f16_e32 v19, v45, v31
	v_add_f16_e32 v45, v30, v41
	v_add_f16_e32 v17, v17, v31
	v_fma_f16 v31, v19, s5, v18
	v_fma_f16 v18, v19, s4, v18
	v_add_f16_e32 v19, v39, v30
	v_fma_f16 v39, v45, -0.5, v39
	v_sub_f16_e32 v45, v20, v21
	v_fma_f16 v67, v45, s4, v39
	v_fma_f16 v39, v45, s5, v39
	v_add_f16_e32 v45, v68, v20
	v_add_f16_e32 v20, v20, v21
	;; [unrolled: 1-line block ×4, first 2 shown]
	v_fma_f16 v20, v20, -0.5, v68
	v_sub_f16_e32 v21, v30, v41
	v_add_f16_e32 v41, v43, v42
	v_fma_f16 v30, v21, s5, v20
	v_fma_f16 v20, v21, s4, v20
	v_add_f16_e32 v21, v40, v43
	v_fma_f16 v40, v41, -0.5, v40
	v_sub_f16_e32 v41, v22, v23
	v_fma_f16 v68, v41, s4, v40
	v_fma_f16 v40, v41, s5, v40
	v_add_f16_e32 v41, v71, v22
	v_add_f16_e32 v22, v22, v23
	;; [unrolled: 1-line block ×3, first 2 shown]
	v_fma_f16 v22, v22, -0.5, v71
	v_sub_f16_e32 v23, v43, v42
	v_add_f16_e32 v43, v44, v46
	v_add_f16_e32 v21, v21, v42
	v_fma_f16 v42, v23, s5, v22
	v_fma_f16 v22, v23, s4, v22
	v_add_f16_e32 v23, v47, v44
	v_fma_f16 v43, v43, -0.5, v47
	v_sub_f16_e32 v47, v24, v25
	v_fma_f16 v71, v47, s4, v43
	v_fma_f16 v43, v47, s5, v43
	v_add_f16_e32 v47, v74, v24
	v_add_f16_e32 v24, v24, v25
	v_add_f16_e32 v23, v23, v46
	v_add_f16_e32 v47, v47, v25
	v_fma_f16 v24, v24, -0.5, v74
	v_sub_f16_e32 v25, v44, v46
	v_add_f16_e32 v46, v49, v50
	v_fma_f16 v44, v25, s5, v24
	v_fma_f16 v24, v25, s4, v24
	v_add_f16_e32 v25, v48, v49
	v_fma_f16 v46, v46, -0.5, v48
	v_sub_f16_e32 v48, v26, v27
	v_fma_f16 v73, v48, s4, v46
	v_fma_f16 v46, v48, s5, v46
	v_add_f16_e32 v48, v77, v26
	v_add_f16_e32 v26, v26, v27
	;; [unrolled: 1-line block ×3, first 2 shown]
	v_fma_f16 v26, v26, -0.5, v77
	v_sub_f16_e32 v27, v49, v50
	v_add_f16_e32 v51, v51, v80
	v_add_f16_e32 v25, v25, v50
	v_fma_f16 v49, v27, s5, v26
	v_fma_f16 v26, v27, s4, v26
	v_mul_u32_u24_e32 v27, 0x18c, v54
	v_lshlrev_b32_sdwa v50, v53, v56 dst_sel:DWORD dst_unused:UNUSED_PAD src0_sel:DWORD src1_sel:BYTE_0
	v_add3_u32 v27, 0, v27, v50
	v_pack_b32_f16 v50, v51, v52
	v_pack_b32_f16 v51, v69, v66
	;; [unrolled: 1-line block ×3, first 2 shown]
	ds_write2_b32 v27, v50, v51 offset1:33
	ds_write_b32 v27, v16 offset:264
	v_mul_u32_u24_e32 v16, 0x18c, v57
	v_lshlrev_b32_sdwa v27, v53, v58 dst_sel:DWORD dst_unused:UNUSED_PAD src0_sel:DWORD src1_sel:BYTE_0
	v_add3_u32 v16, 0, v16, v27
	v_pack_b32_f16 v17, v17, v70
	v_pack_b32_f16 v27, v72, v31
	ds_write2_b32 v16, v17, v27 offset1:33
	v_pack_b32_f16 v17, v29, v18
	ds_write_b32 v16, v17 offset:264
	v_mul_u32_u24_e32 v16, 0x18c, v55
	v_lshlrev_b32_e32 v17, 2, v59
	v_add3_u32 v16, 0, v16, v17
	v_pack_b32_f16 v17, v19, v45
	v_pack_b32_f16 v18, v67, v30
	ds_write2_b32 v16, v17, v18 offset1:33
	v_pack_b32_f16 v17, v39, v20
	ds_write_b32 v16, v17 offset:264
	v_mul_u32_u24_e32 v16, 0x18c, v60
	v_lshlrev_b32_e32 v17, 2, v61
	;; [unrolled: 8-line block ×4, first 2 shown]
	v_add3_u32 v16, 0, v16, v17
	v_pack_b32_f16 v17, v25, v48
	v_pack_b32_f16 v18, v73, v49
	ds_write2_b32 v16, v17, v18 offset1:33
	v_pack_b32_f16 v17, v46, v26
	ds_write_b32 v16, v17 offset:264
	v_lshlrev_b64 v[17:18], 2, v[8:9]
	v_mov_b32_e32 v16, s9
	v_add_co_u32_e32 v17, vcc, s8, v17
	v_addc_co_u32_e32 v18, vcc, v16, v18, vcc
	s_waitcnt lgkmcnt(0)
	s_barrier
	global_load_dwordx2 v[19:20], v[17:18], off offset:352
	v_mul_u32_u24_sdwa v8, v12, s10 dst_sel:DWORD dst_unused:UNUSED_PAD src0_sel:WORD_0 src1_sel:DWORD
	v_lshrrev_b32_e32 v8, 22, v8
	v_mul_lo_u16_e32 v8, 0x63, v8
	v_sub_u16_e32 v8, v12, v8
	v_mul_u32_u24_sdwa v23, v13, s10 dst_sel:DWORD dst_unused:UNUSED_PAD src0_sel:WORD_0 src1_sel:DWORD
	v_lshlrev_b32_e32 v21, 3, v8
	global_load_dwordx2 v[21:22], v21, s[8:9] offset:352
	v_lshrrev_b32_e32 v23, 22, v23
	v_mul_lo_u16_e32 v23, 0x63, v23
	v_sub_u16_e32 v31, v13, v23
	v_lshlrev_b32_e32 v13, 3, v31
	global_load_dwordx2 v[23:24], v13, s[8:9] offset:352
	v_mul_u32_u24_sdwa v13, v14, s10 dst_sel:DWORD dst_unused:UNUSED_PAD src0_sel:WORD_0 src1_sel:DWORD
	v_lshrrev_b32_e32 v13, 22, v13
	v_mul_lo_u16_e32 v13, 0x63, v13
	v_mul_u32_u24_sdwa v25, v15, s10 dst_sel:DWORD dst_unused:UNUSED_PAD src0_sel:WORD_0 src1_sel:DWORD
	v_sub_u16_e32 v53, v14, v13
	v_lshrrev_b32_e32 v25, 22, v25
	v_lshlrev_b32_e32 v13, 3, v53
	v_mul_lo_u16_e32 v25, 0x63, v25
	global_load_dwordx2 v[13:14], v13, s[8:9] offset:352
	v_sub_u16_e32 v15, v15, v25
	v_lshlrev_b32_e32 v25, 3, v15
	global_load_dwordx2 v[25:26], v25, s[8:9] offset:352
	ds_read2_b32 v[27:28], v1 offset1:99
	ds_read2_b32 v[29:30], v34 offset0:82 offset1:181
	ds_read2_b32 v[39:40], v32 offset0:70 offset1:169
	;; [unrolled: 1-line block ×5, first 2 shown]
	s_waitcnt lgkmcnt(4)
	v_lshrrev_b32_e32 v68, 16, v29
	ds_read2_b32 v[47:48], v33 offset0:140 offset1:239
	ds_read2_b32 v[49:50], v36 offset0:94 offset1:193
	;; [unrolled: 1-line block ×3, first 2 shown]
	s_waitcnt lgkmcnt(5)
	v_lshrrev_b32_e32 v57, 16, v41
	s_waitcnt lgkmcnt(4)
	v_lshrrev_b32_e32 v58, 16, v43
	v_lshrrev_b32_e32 v60, 16, v42
	;; [unrolled: 1-line block ×3, first 2 shown]
	s_waitcnt lgkmcnt(1)
	v_lshrrev_b32_e32 v63, 16, v49
	s_waitcnt lgkmcnt(0)
	v_lshrrev_b32_e32 v64, 16, v51
	v_lshrrev_b32_e32 v66, 16, v50
	;; [unrolled: 1-line block ×9, first 2 shown]
	s_waitcnt vmcnt(0)
	s_barrier
	v_lshl_add_u32 v8, v8, 2, 0
	v_mul_f16_sdwa v69, v19, v68 dst_sel:DWORD dst_unused:UNUSED_PAD src0_sel:WORD_1 src1_sel:DWORD
	v_fma_f16 v69, v19, v29, -v69
	v_mul_f16_sdwa v29, v19, v29 dst_sel:DWORD dst_unused:UNUSED_PAD src0_sel:WORD_1 src1_sel:DWORD
	v_fma_f16 v29, v19, v68, v29
	v_lshrrev_b32_e32 v68, 16, v45
	v_mul_f16_sdwa v70, v20, v68 dst_sel:DWORD dst_unused:UNUSED_PAD src0_sel:WORD_1 src1_sel:DWORD
	v_fma_f16 v70, v20, v45, -v70
	v_mul_f16_sdwa v45, v20, v45 dst_sel:DWORD dst_unused:UNUSED_PAD src0_sel:WORD_1 src1_sel:DWORD
	v_fma_f16 v45, v20, v68, v45
	v_lshrrev_b32_e32 v68, 16, v30
	;; [unrolled: 5-line block ×3, first 2 shown]
	v_mul_f16_sdwa v68, v20, v30 dst_sel:DWORD dst_unused:UNUSED_PAD src0_sel:WORD_1 src1_sel:DWORD
	v_fma_f16 v68, v20, v46, -v68
	v_mul_f16_sdwa v46, v20, v46 dst_sel:DWORD dst_unused:UNUSED_PAD src0_sel:WORD_1 src1_sel:DWORD
	v_fma_f16 v20, v20, v30, v46
	v_mul_f16_sdwa v30, v57, v21 dst_sel:DWORD dst_unused:UNUSED_PAD src0_sel:DWORD src1_sel:WORD_1
	v_fma_f16 v30, v41, v21, -v30
	v_mul_f16_sdwa v41, v41, v21 dst_sel:DWORD dst_unused:UNUSED_PAD src0_sel:DWORD src1_sel:WORD_1
	v_fma_f16 v21, v57, v21, v41
	v_mul_f16_sdwa v41, v58, v22 dst_sel:DWORD dst_unused:UNUSED_PAD src0_sel:DWORD src1_sel:WORD_1
	v_fma_f16 v41, v43, v22, -v41
	v_mul_f16_sdwa v43, v43, v22 dst_sel:DWORD dst_unused:UNUSED_PAD src0_sel:DWORD src1_sel:WORD_1
	;; [unrolled: 4-line block ×4, first 2 shown]
	v_fma_f16 v24, v61, v24, v44
	v_mul_f16_sdwa v44, v63, v13 dst_sel:DWORD dst_unused:UNUSED_PAD src0_sel:DWORD src1_sel:WORD_1
	v_mul_f16_sdwa v46, v49, v13 dst_sel:DWORD dst_unused:UNUSED_PAD src0_sel:DWORD src1_sel:WORD_1
	v_fma_f16 v44, v49, v13, -v44
	v_fma_f16 v13, v63, v13, v46
	v_mul_f16_sdwa v46, v64, v14 dst_sel:DWORD dst_unused:UNUSED_PAD src0_sel:DWORD src1_sel:WORD_1
	v_mul_f16_sdwa v49, v51, v14 dst_sel:DWORD dst_unused:UNUSED_PAD src0_sel:DWORD src1_sel:WORD_1
	v_fma_f16 v46, v51, v14, -v46
	v_fma_f16 v14, v64, v14, v49
	v_mul_f16_sdwa v49, v66, v25 dst_sel:DWORD dst_unused:UNUSED_PAD src0_sel:DWORD src1_sel:WORD_1
	v_fma_f16 v49, v50, v25, -v49
	v_mul_f16_sdwa v50, v50, v25 dst_sel:DWORD dst_unused:UNUSED_PAD src0_sel:DWORD src1_sel:WORD_1
	v_fma_f16 v25, v66, v25, v50
	v_mul_f16_sdwa v50, v67, v26 dst_sel:DWORD dst_unused:UNUSED_PAD src0_sel:DWORD src1_sel:WORD_1
	v_fma_f16 v50, v52, v26, -v50
	v_mul_f16_sdwa v51, v52, v26 dst_sel:DWORD dst_unused:UNUSED_PAD src0_sel:DWORD src1_sel:WORD_1
	v_add_f16_e32 v52, v69, v70
	v_fma_f16 v26, v67, v26, v51
	v_add_f16_e32 v51, v27, v69
	v_fma_f16 v27, v52, -0.5, v27
	v_sub_f16_e32 v52, v29, v45
	v_fma_f16 v57, v52, s4, v27
	v_fma_f16 v27, v52, s5, v27
	v_add_f16_e32 v52, v54, v29
	v_add_f16_e32 v29, v29, v45
	v_add_f16_e32 v52, v52, v45
	v_fma_f16 v29, v29, -0.5, v54
	v_sub_f16_e32 v45, v69, v70
	v_add_f16_e32 v58, v71, v68
	v_fma_f16 v54, v45, s5, v29
	v_fma_f16 v29, v45, s4, v29
	v_add_f16_e32 v45, v28, v71
	v_fma_f16 v28, v58, -0.5, v28
	v_sub_f16_e32 v58, v19, v20
	v_fma_f16 v60, v58, s4, v28
	v_fma_f16 v28, v58, s5, v28
	v_add_f16_e32 v58, v55, v19
	v_add_f16_e32 v19, v19, v20
	;; [unrolled: 1-line block ×3, first 2 shown]
	v_fma_f16 v19, v19, -0.5, v55
	v_sub_f16_e32 v20, v71, v68
	v_add_f16_e32 v61, v30, v41
	v_fma_f16 v55, v20, s5, v19
	v_fma_f16 v19, v20, s4, v19
	v_add_f16_e32 v20, v39, v30
	v_fma_f16 v39, v61, -0.5, v39
	v_sub_f16_e32 v61, v21, v22
	v_fma_f16 v63, v61, s4, v39
	v_fma_f16 v39, v61, s5, v39
	v_add_f16_e32 v61, v56, v21
	v_add_f16_e32 v21, v21, v22
	;; [unrolled: 1-line block ×4, first 2 shown]
	v_fma_f16 v21, v21, -0.5, v56
	v_sub_f16_e32 v22, v30, v41
	v_add_f16_e32 v41, v43, v42
	v_fma_f16 v30, v22, s5, v21
	v_fma_f16 v21, v22, s4, v21
	v_add_f16_e32 v22, v40, v43
	v_fma_f16 v40, v41, -0.5, v40
	v_sub_f16_e32 v41, v23, v24
	v_fma_f16 v56, v41, s4, v40
	v_fma_f16 v40, v41, s5, v40
	v_add_f16_e32 v41, v59, v23
	v_add_f16_e32 v23, v23, v24
	v_add_f16_e32 v41, v41, v24
	v_fma_f16 v23, v23, -0.5, v59
	v_sub_f16_e32 v24, v43, v42
	v_add_f16_e32 v43, v44, v46
	v_add_f16_e32 v22, v22, v42
	v_fma_f16 v42, v24, s5, v23
	v_fma_f16 v23, v24, s4, v23
	v_add_f16_e32 v24, v47, v44
	v_fma_f16 v43, v43, -0.5, v47
	v_sub_f16_e32 v47, v13, v14
	v_fma_f16 v59, v47, s4, v43
	v_fma_f16 v43, v47, s5, v43
	v_add_f16_e32 v47, v62, v13
	v_add_f16_e32 v13, v13, v14
	;; [unrolled: 1-line block ×4, first 2 shown]
	v_fma_f16 v13, v13, -0.5, v62
	v_sub_f16_e32 v14, v44, v46
	v_add_f16_e32 v46, v49, v50
	v_fma_f16 v44, v14, s5, v13
	v_fma_f16 v13, v14, s4, v13
	v_add_f16_e32 v14, v48, v49
	v_fma_f16 v46, v46, -0.5, v48
	v_sub_f16_e32 v48, v25, v26
	v_fma_f16 v62, v48, s4, v46
	v_fma_f16 v46, v48, s5, v46
	v_add_f16_e32 v48, v65, v25
	v_add_f16_e32 v25, v25, v26
	;; [unrolled: 1-line block ×4, first 2 shown]
	v_fma_f16 v25, v25, -0.5, v65
	v_sub_f16_e32 v26, v49, v50
	v_add_f16_e32 v45, v45, v68
	v_add_f16_e32 v14, v14, v50
	v_fma_f16 v49, v26, s5, v25
	v_fma_f16 v25, v26, s4, v25
	v_pack_b32_f16 v26, v51, v52
	v_pack_b32_f16 v50, v57, v54
	ds_write2_b32 v1, v26, v50 offset1:99
	v_pack_b32_f16 v26, v27, v29
	v_pack_b32_f16 v27, v45, v58
	ds_write2_b32 v32, v26, v27 offset0:70 offset1:169
	v_pack_b32_f16 v26, v60, v55
	v_pack_b32_f16 v19, v28, v19
	ds_write2_b32 v33, v26, v19 offset0:140 offset1:239
	v_pack_b32_f16 v19, v20, v61
	v_pack_b32_f16 v20, v63, v30
	v_add_u32_e32 v26, 0x800, v8
	ds_write2_b32 v26, v19, v20 offset0:82 offset1:181
	v_pack_b32_f16 v19, v39, v21
	ds_write_b32 v8, v19 offset:3168
	v_lshl_add_u32 v8, v31, 2, 0
	v_pack_b32_f16 v19, v22, v41
	v_pack_b32_f16 v20, v56, v42
	v_add_u32_e32 v21, 0xc00, v8
	ds_write2_b32 v21, v19, v20 offset0:123 offset1:222
	v_pack_b32_f16 v19, v40, v23
	ds_write_b32 v8, v19 offset:4356
	v_lshl_add_u32 v8, v53, 2, 0
	v_pack_b32_f16 v13, v43, v13
	v_add_u32_e32 v21, 0x1200, v8
	ds_write_b32 v8, v13 offset:5544
	v_lshl_add_u32 v8, v15, 2, 0
	v_pack_b32_f16 v13, v14, v48
	v_pack_b32_f16 v14, v62, v49
	v_add_u32_e32 v15, 0x1600, v8
	v_pack_b32_f16 v19, v24, v47
	v_pack_b32_f16 v20, v59, v44
	ds_write2_b32 v15, v13, v14 offset0:77 offset1:176
	v_pack_b32_f16 v13, v46, v25
	ds_write2_b32 v21, v19, v20 offset0:36 offset1:135
	ds_write_b32 v8, v13 offset:6732
	s_waitcnt lgkmcnt(0)
	s_barrier
	global_load_dwordx2 v[13:14], v[17:18], off offset:1144
	v_lshlrev_b32_e32 v8, 1, v11
	v_lshlrev_b64 v[17:18], 2, v[8:9]
	v_lshlrev_b32_e32 v8, 1, v12
	v_add_co_u32_e32 v17, vcc, s8, v17
	v_addc_co_u32_e32 v18, vcc, v16, v18, vcc
	global_load_dwordx2 v[17:18], v[17:18], off offset:1144
	v_lshlrev_b64 v[8:9], 2, v[8:9]
	ds_read2_b32 v[11:12], v1 offset1:99
	v_add_co_u32_e32 v8, vcc, s8, v8
	v_addc_co_u32_e32 v9, vcc, v16, v9, vcc
	global_load_dwordx2 v[8:9], v[8:9], off offset:1144
	ds_read2_b32 v[19:20], v34 offset0:82 offset1:181
	ds_read2_b32 v[21:22], v32 offset0:70 offset1:169
	;; [unrolled: 1-line block ×5, first 2 shown]
	s_waitcnt lgkmcnt(4)
	v_lshrrev_b32_e32 v55, 16, v19
	ds_read2_b32 v[29:30], v33 offset0:140 offset1:239
	ds_read2_b32 v[39:40], v36 offset0:94 offset1:193
	;; [unrolled: 1-line block ×3, first 2 shown]
	s_waitcnt lgkmcnt(5)
	v_lshrrev_b32_e32 v44, 16, v23
	s_waitcnt lgkmcnt(4)
	v_lshrrev_b32_e32 v45, 16, v25
	v_lshrrev_b32_e32 v47, 16, v24
	;; [unrolled: 1-line block ×3, first 2 shown]
	s_waitcnt lgkmcnt(1)
	v_lshrrev_b32_e32 v50, 16, v39
	s_waitcnt lgkmcnt(0)
	v_lshrrev_b32_e32 v51, 16, v41
	v_lshrrev_b32_e32 v53, 16, v40
	;; [unrolled: 1-line block ×9, first 2 shown]
	s_waitcnt vmcnt(0)
	s_barrier
	v_add_co_u32_e32 v4, vcc, s8, v4
	v_addc_co_u32_e32 v5, vcc, v16, v5, vcc
	v_mul_f16_sdwa v56, v13, v55 dst_sel:DWORD dst_unused:UNUSED_PAD src0_sel:WORD_1 src1_sel:DWORD
	v_fma_f16 v56, v13, v19, -v56
	v_mul_f16_sdwa v19, v13, v19 dst_sel:DWORD dst_unused:UNUSED_PAD src0_sel:WORD_1 src1_sel:DWORD
	v_fma_f16 v19, v13, v55, v19
	v_lshrrev_b32_e32 v55, 16, v27
	v_mul_f16_sdwa v57, v14, v55 dst_sel:DWORD dst_unused:UNUSED_PAD src0_sel:WORD_1 src1_sel:DWORD
	v_fma_f16 v57, v14, v27, -v57
	v_mul_f16_sdwa v27, v14, v27 dst_sel:DWORD dst_unused:UNUSED_PAD src0_sel:WORD_1 src1_sel:DWORD
	v_fma_f16 v27, v14, v55, v27
	v_lshrrev_b32_e32 v55, 16, v20
	;; [unrolled: 5-line block ×3, first 2 shown]
	v_mul_f16_sdwa v59, v18, v55 dst_sel:DWORD dst_unused:UNUSED_PAD src0_sel:WORD_1 src1_sel:DWORD
	v_fma_f16 v59, v18, v28, -v59
	v_mul_f16_sdwa v28, v18, v28 dst_sel:DWORD dst_unused:UNUSED_PAD src0_sel:WORD_1 src1_sel:DWORD
	v_fma_f16 v28, v18, v55, v28
	v_mul_f16_sdwa v55, v44, v8 dst_sel:DWORD dst_unused:UNUSED_PAD src0_sel:DWORD src1_sel:WORD_1
	v_fma_f16 v55, v23, v8, -v55
	v_mul_f16_sdwa v23, v23, v8 dst_sel:DWORD dst_unused:UNUSED_PAD src0_sel:DWORD src1_sel:WORD_1
	v_fma_f16 v23, v44, v8, v23
	v_mul_f16_sdwa v44, v45, v9 dst_sel:DWORD dst_unused:UNUSED_PAD src0_sel:DWORD src1_sel:WORD_1
	v_fma_f16 v44, v25, v9, -v44
	v_mul_f16_sdwa v25, v25, v9 dst_sel:DWORD dst_unused:UNUSED_PAD src0_sel:DWORD src1_sel:WORD_1
	;; [unrolled: 4-line block ×8, first 2 shown]
	v_add_f16_e32 v47, v56, v57
	v_fma_f16 v9, v54, v9, v42
	v_add_f16_e32 v42, v11, v56
	v_fma_f16 v11, v47, -0.5, v11
	v_sub_f16_e32 v47, v19, v27
	v_fma_f16 v48, v47, s4, v11
	v_fma_f16 v11, v47, s5, v11
	v_add_f16_e32 v47, v15, v19
	v_add_f16_e32 v19, v19, v27
	v_fma_f16 v15, v19, -0.5, v15
	v_sub_f16_e32 v19, v56, v57
	v_add_f16_e32 v50, v58, v59
	v_add_f16_e32 v47, v47, v27
	v_fma_f16 v27, v19, s5, v15
	v_fma_f16 v15, v19, s4, v15
	v_add_f16_e32 v19, v12, v58
	v_fma_f16 v12, v50, -0.5, v12
	v_sub_f16_e32 v50, v20, v28
	v_fma_f16 v51, v50, s4, v12
	v_fma_f16 v12, v50, s5, v12
	v_add_f16_e32 v50, v31, v20
	v_add_f16_e32 v20, v20, v28
	;; [unrolled: 1-line block ×3, first 2 shown]
	v_fma_f16 v20, v20, -0.5, v31
	v_sub_f16_e32 v28, v58, v59
	v_add_f16_e32 v53, v55, v44
	v_fma_f16 v31, v28, s5, v20
	v_fma_f16 v20, v28, s4, v20
	v_add_f16_e32 v28, v21, v55
	v_fma_f16 v21, v53, -0.5, v21
	v_sub_f16_e32 v53, v23, v25
	v_fma_f16 v54, v53, s4, v21
	v_fma_f16 v21, v53, s5, v21
	v_add_f16_e32 v53, v43, v23
	v_add_f16_e32 v23, v23, v25
	;; [unrolled: 1-line block ×4, first 2 shown]
	v_fma_f16 v23, v23, -0.5, v43
	v_sub_f16_e32 v25, v55, v44
	v_add_f16_e32 v44, v45, v24
	v_fma_f16 v43, v25, s5, v23
	v_fma_f16 v23, v25, s4, v23
	v_add_f16_e32 v25, v22, v45
	v_fma_f16 v22, v44, -0.5, v22
	v_sub_f16_e32 v44, v13, v14
	v_fma_f16 v55, v44, s4, v22
	v_fma_f16 v22, v44, s5, v22
	v_add_f16_e32 v44, v46, v13
	v_add_f16_e32 v13, v13, v14
	;; [unrolled: 1-line block ×3, first 2 shown]
	v_fma_f16 v13, v13, -0.5, v46
	v_sub_f16_e32 v14, v45, v24
	v_add_f16_e32 v45, v26, v39
	v_add_f16_e32 v25, v25, v24
	v_fma_f16 v24, v14, s5, v13
	v_fma_f16 v13, v14, s4, v13
	v_add_f16_e32 v14, v29, v26
	v_fma_f16 v29, v45, -0.5, v29
	v_sub_f16_e32 v45, v17, v18
	v_fma_f16 v46, v45, s4, v29
	v_fma_f16 v29, v45, s5, v29
	v_add_f16_e32 v45, v49, v17
	v_add_f16_e32 v17, v17, v18
	;; [unrolled: 1-line block ×4, first 2 shown]
	v_fma_f16 v17, v17, -0.5, v49
	v_sub_f16_e32 v18, v26, v39
	v_add_f16_e32 v39, v41, v40
	v_fma_f16 v26, v18, s5, v17
	v_fma_f16 v17, v18, s4, v17
	v_add_f16_e32 v18, v30, v41
	v_fma_f16 v30, v39, -0.5, v30
	v_sub_f16_e32 v39, v8, v9
	v_fma_f16 v49, v39, s4, v30
	v_fma_f16 v30, v39, s5, v30
	v_add_f16_e32 v39, v52, v8
	v_add_f16_e32 v8, v8, v9
	;; [unrolled: 1-line block ×5, first 2 shown]
	v_fma_f16 v8, v8, -0.5, v52
	v_sub_f16_e32 v9, v41, v40
	v_pack_b32_f16 v11, v11, v15
	v_pack_b32_f16 v12, v12, v20
	v_add_f16_e32 v18, v18, v40
	v_fma_f16 v40, v9, s5, v8
	v_fma_f16 v8, v9, s4, v8
	v_pack_b32_f16 v9, v42, v47
	v_pack_b32_f16 v27, v48, v27
	;; [unrolled: 1-line block ×3, first 2 shown]
	ds_write2_b32 v34, v11, v12 offset0:82 offset1:181
	v_pack_b32_f16 v11, v28, v53
	ds_write2_b32 v1, v9, v15 offset1:99
	v_pack_b32_f16 v9, v51, v31
	ds_write2_b32 v32, v11, v27 offset0:70 offset1:169
	v_pack_b32_f16 v11, v54, v43
	ds_write2_b32 v33, v9, v11 offset0:140 offset1:239
	v_pack_b32_f16 v9, v21, v23
	v_pack_b32_f16 v11, v25, v44
	ds_write2_b32 v35, v9, v11 offset0:24 offset1:123
	v_pack_b32_f16 v9, v55, v24
	v_pack_b32_f16 v11, v22, v13
	;; [unrolled: 1-line block ×4, first 2 shown]
	ds_write2_b32 v10, v9, v13 offset0:36 offset1:135
	v_pack_b32_f16 v13, v18, v39
	v_pack_b32_f16 v9, v29, v17
	ds_write2_b32 v36, v12, v13 offset0:94 offset1:193
	v_pack_b32_f16 v12, v49, v40
	v_pack_b32_f16 v8, v30, v8
	ds_write2_b32 v37, v12, v11 offset0:106 offset1:205
	ds_write2_b32 v38, v9, v8 offset0:48 offset1:147
	s_waitcnt lgkmcnt(0)
	s_barrier
	global_load_dword v19, v[4:5], off offset:3520
	v_add_co_u32_e32 v4, vcc, s8, v6
	v_addc_co_u32_e32 v5, vcc, v16, v7, vcc
	global_load_dword v20, v[4:5], off offset:3916
	v_add_co_u32_e32 v4, vcc, s7, v4
	v_addc_co_u32_e32 v5, vcc, 0, v5, vcc
	global_load_dword v21, v[4:5], off offset:216
	global_load_dword v22, v[4:5], off offset:1404
	;; [unrolled: 1-line block ×7, first 2 shown]
	ds_read2_b32 v[4:5], v1 offset1:99
	ds_read2_b32 v[6:7], v35 offset0:24 offset1:123
	ds_read2_b32 v[8:9], v36 offset0:94 offset1:193
	;; [unrolled: 1-line block ×6, first 2 shown]
	s_waitcnt vmcnt(8) lgkmcnt(5)
	v_pk_mul_f16 v28, v19, v7 op_sel:[0,1]
	v_pk_fma_f16 v29, v19, v7, v28 op_sel:[0,0,1] op_sel_hi:[1,1,0] neg_lo:[0,0,1] neg_hi:[0,0,1]
	v_pk_fma_f16 v7, v19, v7, v28 op_sel:[0,0,1] op_sel_hi:[1,0,0]
	v_bfi_b32 v7, s6, v29, v7
	v_pk_add_f16 v19, v4, v7 neg_lo:[0,1] neg_hi:[0,1]
	v_pk_fma_f16 v28, v4, 2.0, v19 op_sel_hi:[1,0,1] neg_lo:[0,0,1] neg_hi:[0,0,1]
	s_waitcnt vmcnt(7) lgkmcnt(4)
	v_pk_mul_f16 v4, v20, v8 op_sel:[0,1]
	v_pk_fma_f16 v7, v20, v8, v4 op_sel:[0,0,1] op_sel_hi:[1,1,0] neg_lo:[0,0,1] neg_hi:[0,0,1]
	v_pk_fma_f16 v4, v20, v8, v4 op_sel:[0,0,1] op_sel_hi:[1,0,0]
	v_bfi_b32 v4, s6, v7, v4
	v_pk_add_f16 v20, v5, v4 neg_lo:[0,1] neg_hi:[0,1]
	s_waitcnt vmcnt(6)
	v_pk_mul_f16 v4, v21, v9 op_sel:[0,1]
	v_pk_fma_f16 v29, v5, 2.0, v20 op_sel_hi:[1,0,1] neg_lo:[0,0,1] neg_hi:[0,0,1]
	v_pk_fma_f16 v5, v21, v9, v4 op_sel:[0,0,1] op_sel_hi:[1,1,0] neg_lo:[0,0,1] neg_hi:[0,0,1]
	v_pk_fma_f16 v4, v21, v9, v4 op_sel:[0,0,1] op_sel_hi:[1,0,0]
	v_bfi_b32 v4, s6, v5, v4
	s_waitcnt lgkmcnt(3)
	v_pk_add_f16 v9, v11, v4 neg_lo:[0,1] neg_hi:[0,1]
	s_waitcnt vmcnt(2) lgkmcnt(2)
	v_pk_mul_f16 v4, v25, v13 op_sel:[0,1]
	v_pk_fma_f16 v5, v25, v13, v4 op_sel:[0,0,1] op_sel_hi:[1,1,0] neg_lo:[0,0,1] neg_hi:[0,0,1]
	v_pk_fma_f16 v4, v25, v13, v4 op_sel:[0,0,1] op_sel_hi:[1,0,0]
	v_bfi_b32 v4, s6, v5, v4
	v_pk_add_f16 v13, v12, v4 neg_lo:[0,1] neg_hi:[0,1]
	ds_read2_b32 v[4:5], v37 offset0:106 offset1:205
	s_waitcnt vmcnt(1)
	v_pk_mul_f16 v7, v14, v26 op_sel:[0,1]
	v_pk_fma_f16 v8, v14, v26, v7 op_sel:[0,0,1] op_sel_hi:[1,1,0] neg_lo:[0,0,1] neg_hi:[0,0,1]
	v_pk_fma_f16 v7, v14, v26, v7 op_sel:[0,0,1] op_sel_hi:[1,0,0]
	v_bfi_b32 v7, s6, v8, v7
	s_waitcnt lgkmcnt(2)
	v_pk_add_f16 v14, v15, v7 neg_lo:[0,1] neg_hi:[0,1]
	s_waitcnt lgkmcnt(0)
	v_pk_mul_f16 v7, v4, v22 op_sel:[0,1]
	v_pk_fma_f16 v8, v4, v22, v7 op_sel:[0,0,1] op_sel_hi:[1,1,0] neg_lo:[0,0,1] neg_hi:[0,0,1]
	v_pk_fma_f16 v4, v4, v22, v7 op_sel:[0,0,1] op_sel_hi:[1,0,0]
	v_bfi_b32 v4, s6, v8, v4
	ds_read2_b32 v[7:8], v38 offset0:48 offset1:147
	v_pk_mul_f16 v21, v5, v23 op_sel:[0,1]
	v_pk_fma_f16 v22, v5, v23, v21 op_sel:[0,0,1] op_sel_hi:[1,1,0] neg_lo:[0,0,1] neg_hi:[0,0,1]
	v_pk_fma_f16 v5, v5, v23, v21 op_sel:[0,0,1] op_sel_hi:[1,0,0]
	v_bfi_b32 v5, s6, v22, v5
	s_waitcnt lgkmcnt(0)
	v_pk_mul_f16 v21, v7, v24 op_sel:[0,1]
	v_pk_fma_f16 v22, v7, v24, v21 op_sel:[0,0,1] op_sel_hi:[1,1,0] neg_lo:[0,0,1] neg_hi:[0,0,1]
	v_pk_fma_f16 v7, v7, v24, v21 op_sel:[0,0,1] op_sel_hi:[1,0,0]
	s_waitcnt vmcnt(0)
	v_pk_mul_f16 v21, v8, v27 op_sel:[0,1]
	v_bfi_b32 v7, s6, v22, v7
	v_pk_fma_f16 v22, v8, v27, v21 op_sel:[0,0,1] op_sel_hi:[1,1,0] neg_lo:[0,0,1] neg_hi:[0,0,1]
	v_pk_fma_f16 v8, v8, v27, v21 op_sel:[0,0,1] op_sel_hi:[1,0,0]
	v_bfi_b32 v8, s6, v22, v8
	v_pk_add_f16 v4, v16, v4 neg_lo:[0,1] neg_hi:[0,1]
	v_pk_add_f16 v5, v17, v5 neg_lo:[0,1] neg_hi:[0,1]
	;; [unrolled: 1-line block ×4, first 2 shown]
	v_pk_fma_f16 v11, v11, 2.0, v9 op_sel_hi:[1,0,1] neg_lo:[0,0,1] neg_hi:[0,0,1]
	v_pk_fma_f16 v12, v12, 2.0, v13 op_sel_hi:[1,0,1] neg_lo:[0,0,1] neg_hi:[0,0,1]
	;; [unrolled: 1-line block ×7, first 2 shown]
	s_barrier
	ds_write2_b32 v1, v28, v29 offset1:99
	ds_write2_b32 v36, v20, v9 offset0:94 offset1:193
	ds_write2_b32 v32, v11, v12 offset0:70 offset1:169
	;; [unrolled: 1-line block ×8, first 2 shown]
	s_waitcnt lgkmcnt(0)
	s_barrier
	s_and_saveexec_b64 s[4:5], s[0:1]
	s_cbranch_execz .LBB0_21
; %bb.20:
	v_lshl_add_u32 v6, v0, 2, 0
	v_mov_b32_e32 v1, 0
	ds_read2_b32 v[4:5], v6 offset1:99
	v_mov_b32_e32 v7, s3
	v_add_co_u32_e32 v8, vcc, s2, v2
	v_addc_co_u32_e32 v7, vcc, v7, v3, vcc
	v_lshlrev_b64 v[2:3], 2, v[0:1]
	v_add_co_u32_e32 v2, vcc, v8, v2
	v_addc_co_u32_e32 v3, vcc, v7, v3, vcc
	s_waitcnt lgkmcnt(0)
	global_store_dword v[2:3], v4, off
	v_add_u32_e32 v2, 0x63, v0
	v_mov_b32_e32 v3, v1
	v_lshlrev_b64 v[2:3], 2, v[2:3]
	v_add_u32_e32 v4, 0x200, v6
	v_add_co_u32_e32 v2, vcc, v8, v2
	v_addc_co_u32_e32 v3, vcc, v7, v3, vcc
	global_store_dword v[2:3], v5, off
	v_add_u32_e32 v2, 0xc6, v0
	v_mov_b32_e32 v3, v1
	ds_read2_b32 v[4:5], v4 offset0:70 offset1:169
	v_lshlrev_b64 v[2:3], 2, v[2:3]
	v_add_co_u32_e32 v2, vcc, v8, v2
	v_addc_co_u32_e32 v3, vcc, v7, v3, vcc
	s_waitcnt lgkmcnt(0)
	global_store_dword v[2:3], v4, off
	v_add_u32_e32 v2, 0x129, v0
	v_mov_b32_e32 v3, v1
	v_lshlrev_b64 v[2:3], 2, v[2:3]
	v_add_u32_e32 v4, 0x400, v6
	v_add_co_u32_e32 v2, vcc, v8, v2
	v_addc_co_u32_e32 v3, vcc, v7, v3, vcc
	global_store_dword v[2:3], v5, off
	v_add_u32_e32 v2, 0x18c, v0
	v_mov_b32_e32 v3, v1
	ds_read2_b32 v[4:5], v4 offset0:140 offset1:239
	v_lshlrev_b64 v[2:3], 2, v[2:3]
	v_add_co_u32_e32 v2, vcc, v8, v2
	v_addc_co_u32_e32 v3, vcc, v7, v3, vcc
	s_waitcnt lgkmcnt(0)
	global_store_dword v[2:3], v4, off
	v_add_u32_e32 v2, 0x1ef, v0
	v_mov_b32_e32 v3, v1
	v_lshlrev_b64 v[2:3], 2, v[2:3]
	v_add_u32_e32 v4, 0x800, v6
	v_add_co_u32_e32 v2, vcc, v8, v2
	v_addc_co_u32_e32 v3, vcc, v7, v3, vcc
	global_store_dword v[2:3], v5, off
	v_add_u32_e32 v2, 0x252, v0
	v_mov_b32_e32 v3, v1
	ds_read2_b32 v[4:5], v4 offset0:82 offset1:181
	v_lshlrev_b64 v[2:3], 2, v[2:3]
	v_add_co_u32_e32 v2, vcc, v8, v2
	v_addc_co_u32_e32 v3, vcc, v7, v3, vcc
	s_waitcnt lgkmcnt(0)
	global_store_dword v[2:3], v4, off
	v_add_u32_e32 v2, 0x2b5, v0
	v_mov_b32_e32 v3, v1
	v_lshlrev_b64 v[2:3], 2, v[2:3]
	v_add_u32_e32 v4, 0xc00, v6
	v_add_co_u32_e32 v2, vcc, v8, v2
	v_addc_co_u32_e32 v3, vcc, v7, v3, vcc
	global_store_dword v[2:3], v5, off
	v_add_u32_e32 v2, 0x318, v0
	v_mov_b32_e32 v3, v1
	ds_read2_b32 v[4:5], v4 offset0:24 offset1:123
	v_lshlrev_b64 v[2:3], 2, v[2:3]
	v_add_co_u32_e32 v2, vcc, v8, v2
	v_addc_co_u32_e32 v3, vcc, v7, v3, vcc
	s_waitcnt lgkmcnt(0)
	global_store_dword v[2:3], v4, off
	v_add_u32_e32 v2, 0x37b, v0
	v_mov_b32_e32 v3, v1
	v_lshlrev_b64 v[2:3], 2, v[2:3]
	v_add_u32_e32 v4, 0xe00, v6
	v_add_co_u32_e32 v2, vcc, v8, v2
	v_addc_co_u32_e32 v3, vcc, v7, v3, vcc
	global_store_dword v[2:3], v5, off
	v_add_u32_e32 v2, 0x3de, v0
	v_mov_b32_e32 v3, v1
	ds_read2_b32 v[4:5], v4 offset0:94 offset1:193
	v_lshlrev_b64 v[2:3], 2, v[2:3]
	v_add_co_u32_e32 v2, vcc, v8, v2
	v_addc_co_u32_e32 v3, vcc, v7, v3, vcc
	s_waitcnt lgkmcnt(0)
	global_store_dword v[2:3], v4, off
	v_add_u32_e32 v2, 0x441, v0
	v_mov_b32_e32 v3, v1
	v_lshlrev_b64 v[2:3], 2, v[2:3]
	v_add_u32_e32 v4, 0x1200, v6
	v_add_co_u32_e32 v2, vcc, v8, v2
	v_addc_co_u32_e32 v3, vcc, v7, v3, vcc
	global_store_dword v[2:3], v5, off
	v_add_u32_e32 v2, 0x4a4, v0
	v_mov_b32_e32 v3, v1
	ds_read2_b32 v[4:5], v4 offset0:36 offset1:135
	v_lshlrev_b64 v[2:3], 2, v[2:3]
	v_add_co_u32_e32 v2, vcc, v8, v2
	v_addc_co_u32_e32 v3, vcc, v7, v3, vcc
	s_waitcnt lgkmcnt(0)
	global_store_dword v[2:3], v4, off
	v_add_u32_e32 v2, 0x507, v0
	v_mov_b32_e32 v3, v1
	v_lshlrev_b64 v[2:3], 2, v[2:3]
	v_add_u32_e32 v4, 0x1400, v6
	v_add_co_u32_e32 v2, vcc, v8, v2
	v_addc_co_u32_e32 v3, vcc, v7, v3, vcc
	global_store_dword v[2:3], v5, off
	v_add_u32_e32 v2, 0x56a, v0
	v_mov_b32_e32 v3, v1
	ds_read2_b32 v[4:5], v4 offset0:106 offset1:205
	v_lshlrev_b64 v[2:3], 2, v[2:3]
	v_add_co_u32_e32 v2, vcc, v8, v2
	v_addc_co_u32_e32 v3, vcc, v7, v3, vcc
	s_waitcnt lgkmcnt(0)
	global_store_dword v[2:3], v4, off
	v_add_u32_e32 v2, 0x5cd, v0
	v_mov_b32_e32 v3, v1
	v_lshlrev_b64 v[2:3], 2, v[2:3]
	v_add_u32_e32 v4, 0x1800, v6
	v_add_co_u32_e32 v2, vcc, v8, v2
	v_addc_co_u32_e32 v3, vcc, v7, v3, vcc
	global_store_dword v[2:3], v5, off
	v_add_u32_e32 v2, 0x630, v0
	v_mov_b32_e32 v3, v1
	v_lshlrev_b64 v[2:3], 2, v[2:3]
	ds_read2_b32 v[4:5], v4 offset0:48 offset1:147
	v_add_u32_e32 v0, 0x693, v0
	v_add_co_u32_e32 v2, vcc, v8, v2
	v_lshlrev_b64 v[0:1], 2, v[0:1]
	v_addc_co_u32_e32 v3, vcc, v7, v3, vcc
	v_add_co_u32_e32 v0, vcc, v8, v0
	v_addc_co_u32_e32 v1, vcc, v7, v1, vcc
	s_waitcnt lgkmcnt(0)
	global_store_dword v[2:3], v4, off
	global_store_dword v[0:1], v5, off
.LBB0_21:
	s_endpgm
	.section	.rodata,"a",@progbits
	.p2align	6, 0x0
	.amdhsa_kernel fft_rtc_fwd_len1782_factors_11_3_3_3_3_2_wgs_99_tpt_99_halfLds_half_ip_CI_unitstride_sbrr_C2R_dirReg
		.amdhsa_group_segment_fixed_size 0
		.amdhsa_private_segment_fixed_size 0
		.amdhsa_kernarg_size 88
		.amdhsa_user_sgpr_count 6
		.amdhsa_user_sgpr_private_segment_buffer 1
		.amdhsa_user_sgpr_dispatch_ptr 0
		.amdhsa_user_sgpr_queue_ptr 0
		.amdhsa_user_sgpr_kernarg_segment_ptr 1
		.amdhsa_user_sgpr_dispatch_id 0
		.amdhsa_user_sgpr_flat_scratch_init 0
		.amdhsa_user_sgpr_private_segment_size 0
		.amdhsa_uses_dynamic_stack 0
		.amdhsa_system_sgpr_private_segment_wavefront_offset 0
		.amdhsa_system_sgpr_workgroup_id_x 1
		.amdhsa_system_sgpr_workgroup_id_y 0
		.amdhsa_system_sgpr_workgroup_id_z 0
		.amdhsa_system_sgpr_workgroup_info 0
		.amdhsa_system_vgpr_workitem_id 0
		.amdhsa_next_free_vgpr 89
		.amdhsa_next_free_sgpr 35
		.amdhsa_reserve_vcc 1
		.amdhsa_reserve_flat_scratch 0
		.amdhsa_float_round_mode_32 0
		.amdhsa_float_round_mode_16_64 0
		.amdhsa_float_denorm_mode_32 3
		.amdhsa_float_denorm_mode_16_64 3
		.amdhsa_dx10_clamp 1
		.amdhsa_ieee_mode 1
		.amdhsa_fp16_overflow 0
		.amdhsa_exception_fp_ieee_invalid_op 0
		.amdhsa_exception_fp_denorm_src 0
		.amdhsa_exception_fp_ieee_div_zero 0
		.amdhsa_exception_fp_ieee_overflow 0
		.amdhsa_exception_fp_ieee_underflow 0
		.amdhsa_exception_fp_ieee_inexact 0
		.amdhsa_exception_int_div_zero 0
	.end_amdhsa_kernel
	.text
.Lfunc_end0:
	.size	fft_rtc_fwd_len1782_factors_11_3_3_3_3_2_wgs_99_tpt_99_halfLds_half_ip_CI_unitstride_sbrr_C2R_dirReg, .Lfunc_end0-fft_rtc_fwd_len1782_factors_11_3_3_3_3_2_wgs_99_tpt_99_halfLds_half_ip_CI_unitstride_sbrr_C2R_dirReg
                                        ; -- End function
	.section	.AMDGPU.csdata,"",@progbits
; Kernel info:
; codeLenInByte = 15260
; NumSgprs: 39
; NumVgprs: 89
; ScratchSize: 0
; MemoryBound: 0
; FloatMode: 240
; IeeeMode: 1
; LDSByteSize: 0 bytes/workgroup (compile time only)
; SGPRBlocks: 4
; VGPRBlocks: 22
; NumSGPRsForWavesPerEU: 39
; NumVGPRsForWavesPerEU: 89
; Occupancy: 2
; WaveLimiterHint : 1
; COMPUTE_PGM_RSRC2:SCRATCH_EN: 0
; COMPUTE_PGM_RSRC2:USER_SGPR: 6
; COMPUTE_PGM_RSRC2:TRAP_HANDLER: 0
; COMPUTE_PGM_RSRC2:TGID_X_EN: 1
; COMPUTE_PGM_RSRC2:TGID_Y_EN: 0
; COMPUTE_PGM_RSRC2:TGID_Z_EN: 0
; COMPUTE_PGM_RSRC2:TIDIG_COMP_CNT: 0
	.type	__hip_cuid_15aefe8e5894245f,@object ; @__hip_cuid_15aefe8e5894245f
	.section	.bss,"aw",@nobits
	.globl	__hip_cuid_15aefe8e5894245f
__hip_cuid_15aefe8e5894245f:
	.byte	0                               ; 0x0
	.size	__hip_cuid_15aefe8e5894245f, 1

	.ident	"AMD clang version 19.0.0git (https://github.com/RadeonOpenCompute/llvm-project roc-6.4.0 25133 c7fe45cf4b819c5991fe208aaa96edf142730f1d)"
	.section	".note.GNU-stack","",@progbits
	.addrsig
	.addrsig_sym __hip_cuid_15aefe8e5894245f
	.amdgpu_metadata
---
amdhsa.kernels:
  - .args:
      - .actual_access:  read_only
        .address_space:  global
        .offset:         0
        .size:           8
        .value_kind:     global_buffer
      - .offset:         8
        .size:           8
        .value_kind:     by_value
      - .actual_access:  read_only
        .address_space:  global
        .offset:         16
        .size:           8
        .value_kind:     global_buffer
      - .actual_access:  read_only
        .address_space:  global
        .offset:         24
        .size:           8
        .value_kind:     global_buffer
      - .offset:         32
        .size:           8
        .value_kind:     by_value
      - .actual_access:  read_only
        .address_space:  global
        .offset:         40
        .size:           8
        .value_kind:     global_buffer
      - .actual_access:  read_only
        .address_space:  global
        .offset:         48
        .size:           8
        .value_kind:     global_buffer
      - .offset:         56
        .size:           4
        .value_kind:     by_value
      - .actual_access:  read_only
        .address_space:  global
        .offset:         64
        .size:           8
        .value_kind:     global_buffer
      - .actual_access:  read_only
        .address_space:  global
        .offset:         72
        .size:           8
        .value_kind:     global_buffer
      - .address_space:  global
        .offset:         80
        .size:           8
        .value_kind:     global_buffer
    .group_segment_fixed_size: 0
    .kernarg_segment_align: 8
    .kernarg_segment_size: 88
    .language:       OpenCL C
    .language_version:
      - 2
      - 0
    .max_flat_workgroup_size: 99
    .name:           fft_rtc_fwd_len1782_factors_11_3_3_3_3_2_wgs_99_tpt_99_halfLds_half_ip_CI_unitstride_sbrr_C2R_dirReg
    .private_segment_fixed_size: 0
    .sgpr_count:     39
    .sgpr_spill_count: 0
    .symbol:         fft_rtc_fwd_len1782_factors_11_3_3_3_3_2_wgs_99_tpt_99_halfLds_half_ip_CI_unitstride_sbrr_C2R_dirReg.kd
    .uniform_work_group_size: 1
    .uses_dynamic_stack: false
    .vgpr_count:     89
    .vgpr_spill_count: 0
    .wavefront_size: 64
amdhsa.target:   amdgcn-amd-amdhsa--gfx906
amdhsa.version:
  - 1
  - 2
...

	.end_amdgpu_metadata
